;; amdgpu-corpus repo=ROCm/rocFFT kind=compiled arch=gfx1100 opt=O3
	.text
	.amdgcn_target "amdgcn-amd-amdhsa--gfx1100"
	.amdhsa_code_object_version 6
	.protected	fft_rtc_fwd_len1782_factors_11_3_3_3_3_2_wgs_99_tpt_99_halfLds_dp_op_CI_CI_unitstride_sbrr_R2C_dirReg ; -- Begin function fft_rtc_fwd_len1782_factors_11_3_3_3_3_2_wgs_99_tpt_99_halfLds_dp_op_CI_CI_unitstride_sbrr_R2C_dirReg
	.globl	fft_rtc_fwd_len1782_factors_11_3_3_3_3_2_wgs_99_tpt_99_halfLds_dp_op_CI_CI_unitstride_sbrr_R2C_dirReg
	.p2align	8
	.type	fft_rtc_fwd_len1782_factors_11_3_3_3_3_2_wgs_99_tpt_99_halfLds_dp_op_CI_CI_unitstride_sbrr_R2C_dirReg,@function
fft_rtc_fwd_len1782_factors_11_3_3_3_3_2_wgs_99_tpt_99_halfLds_dp_op_CI_CI_unitstride_sbrr_R2C_dirReg: ; @fft_rtc_fwd_len1782_factors_11_3_3_3_3_2_wgs_99_tpt_99_halfLds_dp_op_CI_CI_unitstride_sbrr_R2C_dirReg
; %bb.0:
	s_clause 0x2
	s_load_b128 s[8:11], s[0:1], 0x0
	s_load_b128 s[4:7], s[0:1], 0x58
	;; [unrolled: 1-line block ×3, first 2 shown]
	v_mul_u32_u24_e32 v1, 0x296, v0
	v_mov_b32_e32 v3, 0
	s_delay_alu instid0(VALU_DEP_2) | instskip(NEXT) | instid1(VALU_DEP_1)
	v_lshrrev_b32_e32 v1, 16, v1
	v_add_nc_u32_e32 v5, s15, v1
	v_mov_b32_e32 v1, 0
	v_mov_b32_e32 v2, 0
	;; [unrolled: 1-line block ×3, first 2 shown]
	s_waitcnt lgkmcnt(0)
	v_cmp_lt_u64_e64 s2, s[10:11], 2
	s_delay_alu instid0(VALU_DEP_1)
	s_and_b32 vcc_lo, exec_lo, s2
	s_cbranch_vccnz .LBB0_8
; %bb.1:
	s_load_b64 s[2:3], s[0:1], 0x10
	v_mov_b32_e32 v1, 0
	v_mov_b32_e32 v2, 0
	s_add_u32 s12, s18, 8
	s_addc_u32 s13, s19, 0
	s_add_u32 s14, s16, 8
	s_addc_u32 s15, s17, 0
	v_dual_mov_b32 v113, v2 :: v_dual_mov_b32 v112, v1
	s_mov_b64 s[22:23], 1
	s_waitcnt lgkmcnt(0)
	s_add_u32 s20, s2, 8
	s_addc_u32 s21, s3, 0
.LBB0_2:                                ; =>This Inner Loop Header: Depth=1
	s_load_b64 s[24:25], s[20:21], 0x0
                                        ; implicit-def: $vgpr116_vgpr117
	s_mov_b32 s2, exec_lo
	s_waitcnt lgkmcnt(0)
	v_or_b32_e32 v4, s25, v6
	s_delay_alu instid0(VALU_DEP_1)
	v_cmpx_ne_u64_e32 0, v[3:4]
	s_xor_b32 s3, exec_lo, s2
	s_cbranch_execz .LBB0_4
; %bb.3:                                ;   in Loop: Header=BB0_2 Depth=1
	v_cvt_f32_u32_e32 v4, s24
	v_cvt_f32_u32_e32 v7, s25
	s_sub_u32 s2, 0, s24
	s_subb_u32 s26, 0, s25
	s_delay_alu instid0(VALU_DEP_1) | instskip(NEXT) | instid1(VALU_DEP_1)
	v_fmac_f32_e32 v4, 0x4f800000, v7
	v_rcp_f32_e32 v4, v4
	s_waitcnt_depctr 0xfff
	v_mul_f32_e32 v4, 0x5f7ffffc, v4
	s_delay_alu instid0(VALU_DEP_1) | instskip(NEXT) | instid1(VALU_DEP_1)
	v_mul_f32_e32 v7, 0x2f800000, v4
	v_trunc_f32_e32 v7, v7
	s_delay_alu instid0(VALU_DEP_1) | instskip(SKIP_1) | instid1(VALU_DEP_2)
	v_fmac_f32_e32 v4, 0xcf800000, v7
	v_cvt_u32_f32_e32 v7, v7
	v_cvt_u32_f32_e32 v4, v4
	s_delay_alu instid0(VALU_DEP_2) | instskip(NEXT) | instid1(VALU_DEP_2)
	v_mul_lo_u32 v8, s2, v7
	v_mul_hi_u32 v9, s2, v4
	v_mul_lo_u32 v10, s26, v4
	s_delay_alu instid0(VALU_DEP_2) | instskip(SKIP_1) | instid1(VALU_DEP_2)
	v_add_nc_u32_e32 v8, v9, v8
	v_mul_lo_u32 v9, s2, v4
	v_add_nc_u32_e32 v8, v8, v10
	s_delay_alu instid0(VALU_DEP_2) | instskip(NEXT) | instid1(VALU_DEP_2)
	v_mul_hi_u32 v10, v4, v9
	v_mul_lo_u32 v11, v4, v8
	v_mul_hi_u32 v12, v4, v8
	v_mul_hi_u32 v13, v7, v9
	v_mul_lo_u32 v9, v7, v9
	v_mul_hi_u32 v14, v7, v8
	v_mul_lo_u32 v8, v7, v8
	v_add_co_u32 v10, vcc_lo, v10, v11
	v_add_co_ci_u32_e32 v11, vcc_lo, 0, v12, vcc_lo
	s_delay_alu instid0(VALU_DEP_2) | instskip(NEXT) | instid1(VALU_DEP_2)
	v_add_co_u32 v9, vcc_lo, v10, v9
	v_add_co_ci_u32_e32 v9, vcc_lo, v11, v13, vcc_lo
	v_add_co_ci_u32_e32 v10, vcc_lo, 0, v14, vcc_lo
	s_delay_alu instid0(VALU_DEP_2) | instskip(NEXT) | instid1(VALU_DEP_2)
	v_add_co_u32 v8, vcc_lo, v9, v8
	v_add_co_ci_u32_e32 v9, vcc_lo, 0, v10, vcc_lo
	s_delay_alu instid0(VALU_DEP_2) | instskip(NEXT) | instid1(VALU_DEP_2)
	v_add_co_u32 v4, vcc_lo, v4, v8
	v_add_co_ci_u32_e32 v7, vcc_lo, v7, v9, vcc_lo
	s_delay_alu instid0(VALU_DEP_2) | instskip(SKIP_1) | instid1(VALU_DEP_3)
	v_mul_hi_u32 v8, s2, v4
	v_mul_lo_u32 v10, s26, v4
	v_mul_lo_u32 v9, s2, v7
	s_delay_alu instid0(VALU_DEP_1) | instskip(SKIP_1) | instid1(VALU_DEP_2)
	v_add_nc_u32_e32 v8, v8, v9
	v_mul_lo_u32 v9, s2, v4
	v_add_nc_u32_e32 v8, v8, v10
	s_delay_alu instid0(VALU_DEP_2) | instskip(NEXT) | instid1(VALU_DEP_2)
	v_mul_hi_u32 v10, v4, v9
	v_mul_lo_u32 v11, v4, v8
	v_mul_hi_u32 v12, v4, v8
	v_mul_hi_u32 v13, v7, v9
	v_mul_lo_u32 v9, v7, v9
	v_mul_hi_u32 v14, v7, v8
	v_mul_lo_u32 v8, v7, v8
	v_add_co_u32 v10, vcc_lo, v10, v11
	v_add_co_ci_u32_e32 v11, vcc_lo, 0, v12, vcc_lo
	s_delay_alu instid0(VALU_DEP_2) | instskip(NEXT) | instid1(VALU_DEP_2)
	v_add_co_u32 v9, vcc_lo, v10, v9
	v_add_co_ci_u32_e32 v9, vcc_lo, v11, v13, vcc_lo
	v_add_co_ci_u32_e32 v10, vcc_lo, 0, v14, vcc_lo
	s_delay_alu instid0(VALU_DEP_2) | instskip(NEXT) | instid1(VALU_DEP_2)
	v_add_co_u32 v8, vcc_lo, v9, v8
	v_add_co_ci_u32_e32 v9, vcc_lo, 0, v10, vcc_lo
	s_delay_alu instid0(VALU_DEP_2) | instskip(NEXT) | instid1(VALU_DEP_2)
	v_add_co_u32 v4, vcc_lo, v4, v8
	v_add_co_ci_u32_e32 v13, vcc_lo, v7, v9, vcc_lo
	s_delay_alu instid0(VALU_DEP_2) | instskip(SKIP_1) | instid1(VALU_DEP_3)
	v_mul_hi_u32 v14, v5, v4
	v_mad_u64_u32 v[9:10], null, v6, v4, 0
	v_mad_u64_u32 v[7:8], null, v5, v13, 0
	;; [unrolled: 1-line block ×3, first 2 shown]
	s_delay_alu instid0(VALU_DEP_2) | instskip(NEXT) | instid1(VALU_DEP_3)
	v_add_co_u32 v4, vcc_lo, v14, v7
	v_add_co_ci_u32_e32 v7, vcc_lo, 0, v8, vcc_lo
	s_delay_alu instid0(VALU_DEP_2) | instskip(NEXT) | instid1(VALU_DEP_2)
	v_add_co_u32 v4, vcc_lo, v4, v9
	v_add_co_ci_u32_e32 v4, vcc_lo, v7, v10, vcc_lo
	v_add_co_ci_u32_e32 v7, vcc_lo, 0, v12, vcc_lo
	s_delay_alu instid0(VALU_DEP_2) | instskip(NEXT) | instid1(VALU_DEP_2)
	v_add_co_u32 v4, vcc_lo, v4, v11
	v_add_co_ci_u32_e32 v9, vcc_lo, 0, v7, vcc_lo
	s_delay_alu instid0(VALU_DEP_2) | instskip(SKIP_1) | instid1(VALU_DEP_3)
	v_mul_lo_u32 v10, s25, v4
	v_mad_u64_u32 v[7:8], null, s24, v4, 0
	v_mul_lo_u32 v11, s24, v9
	s_delay_alu instid0(VALU_DEP_2) | instskip(NEXT) | instid1(VALU_DEP_2)
	v_sub_co_u32 v7, vcc_lo, v5, v7
	v_add3_u32 v8, v8, v11, v10
	s_delay_alu instid0(VALU_DEP_1) | instskip(NEXT) | instid1(VALU_DEP_1)
	v_sub_nc_u32_e32 v10, v6, v8
	v_subrev_co_ci_u32_e64 v10, s2, s25, v10, vcc_lo
	v_add_co_u32 v11, s2, v4, 2
	s_delay_alu instid0(VALU_DEP_1) | instskip(SKIP_3) | instid1(VALU_DEP_3)
	v_add_co_ci_u32_e64 v12, s2, 0, v9, s2
	v_sub_co_u32 v13, s2, v7, s24
	v_sub_co_ci_u32_e32 v8, vcc_lo, v6, v8, vcc_lo
	v_subrev_co_ci_u32_e64 v10, s2, 0, v10, s2
	v_cmp_le_u32_e32 vcc_lo, s24, v13
	s_delay_alu instid0(VALU_DEP_3) | instskip(SKIP_1) | instid1(VALU_DEP_4)
	v_cmp_eq_u32_e64 s2, s25, v8
	v_cndmask_b32_e64 v13, 0, -1, vcc_lo
	v_cmp_le_u32_e32 vcc_lo, s25, v10
	v_cndmask_b32_e64 v14, 0, -1, vcc_lo
	v_cmp_le_u32_e32 vcc_lo, s24, v7
	;; [unrolled: 2-line block ×3, first 2 shown]
	v_cndmask_b32_e64 v15, 0, -1, vcc_lo
	v_cmp_eq_u32_e32 vcc_lo, s25, v10
	s_delay_alu instid0(VALU_DEP_2) | instskip(SKIP_3) | instid1(VALU_DEP_3)
	v_cndmask_b32_e64 v7, v15, v7, s2
	v_cndmask_b32_e32 v10, v14, v13, vcc_lo
	v_add_co_u32 v13, vcc_lo, v4, 1
	v_add_co_ci_u32_e32 v14, vcc_lo, 0, v9, vcc_lo
	v_cmp_ne_u32_e32 vcc_lo, 0, v10
	s_delay_alu instid0(VALU_DEP_2) | instskip(NEXT) | instid1(VALU_DEP_4)
	v_cndmask_b32_e32 v8, v14, v12, vcc_lo
	v_cndmask_b32_e32 v10, v13, v11, vcc_lo
	v_cmp_ne_u32_e32 vcc_lo, 0, v7
	s_delay_alu instid0(VALU_DEP_2)
	v_dual_cndmask_b32 v117, v9, v8 :: v_dual_cndmask_b32 v116, v4, v10
.LBB0_4:                                ;   in Loop: Header=BB0_2 Depth=1
	s_and_not1_saveexec_b32 s2, s3
	s_cbranch_execz .LBB0_6
; %bb.5:                                ;   in Loop: Header=BB0_2 Depth=1
	v_cvt_f32_u32_e32 v4, s24
	s_sub_i32 s3, 0, s24
	v_mov_b32_e32 v117, v3
	s_delay_alu instid0(VALU_DEP_2) | instskip(SKIP_2) | instid1(VALU_DEP_1)
	v_rcp_iflag_f32_e32 v4, v4
	s_waitcnt_depctr 0xfff
	v_mul_f32_e32 v4, 0x4f7ffffe, v4
	v_cvt_u32_f32_e32 v4, v4
	s_delay_alu instid0(VALU_DEP_1) | instskip(NEXT) | instid1(VALU_DEP_1)
	v_mul_lo_u32 v7, s3, v4
	v_mul_hi_u32 v7, v4, v7
	s_delay_alu instid0(VALU_DEP_1) | instskip(NEXT) | instid1(VALU_DEP_1)
	v_add_nc_u32_e32 v4, v4, v7
	v_mul_hi_u32 v4, v5, v4
	s_delay_alu instid0(VALU_DEP_1) | instskip(SKIP_1) | instid1(VALU_DEP_2)
	v_mul_lo_u32 v7, v4, s24
	v_add_nc_u32_e32 v8, 1, v4
	v_sub_nc_u32_e32 v7, v5, v7
	s_delay_alu instid0(VALU_DEP_1) | instskip(SKIP_1) | instid1(VALU_DEP_2)
	v_subrev_nc_u32_e32 v9, s24, v7
	v_cmp_le_u32_e32 vcc_lo, s24, v7
	v_dual_cndmask_b32 v7, v7, v9 :: v_dual_cndmask_b32 v4, v4, v8
	s_delay_alu instid0(VALU_DEP_1) | instskip(NEXT) | instid1(VALU_DEP_2)
	v_cmp_le_u32_e32 vcc_lo, s24, v7
	v_add_nc_u32_e32 v8, 1, v4
	s_delay_alu instid0(VALU_DEP_1)
	v_cndmask_b32_e32 v116, v4, v8, vcc_lo
.LBB0_6:                                ;   in Loop: Header=BB0_2 Depth=1
	s_or_b32 exec_lo, exec_lo, s2
	s_delay_alu instid0(VALU_DEP_1) | instskip(NEXT) | instid1(VALU_DEP_2)
	v_mul_lo_u32 v4, v117, s24
	v_mul_lo_u32 v9, v116, s25
	s_load_b64 s[2:3], s[14:15], 0x0
	v_mad_u64_u32 v[7:8], null, v116, s24, 0
	s_load_b64 s[24:25], s[12:13], 0x0
	s_add_u32 s22, s22, 1
	s_addc_u32 s23, s23, 0
	s_add_u32 s12, s12, 8
	s_addc_u32 s13, s13, 0
	s_add_u32 s14, s14, 8
	s_delay_alu instid0(VALU_DEP_1) | instskip(SKIP_3) | instid1(VALU_DEP_2)
	v_add3_u32 v4, v8, v9, v4
	v_sub_co_u32 v8, vcc_lo, v5, v7
	s_addc_u32 s15, s15, 0
	s_add_u32 s20, s20, 8
	v_sub_co_ci_u32_e32 v6, vcc_lo, v6, v4, vcc_lo
	s_addc_u32 s21, s21, 0
	s_waitcnt lgkmcnt(0)
	s_delay_alu instid0(VALU_DEP_1)
	v_mul_lo_u32 v9, s2, v6
	v_mul_lo_u32 v10, s3, v8
	v_mad_u64_u32 v[4:5], null, s2, v8, v[1:2]
	v_mul_lo_u32 v11, s24, v6
	v_mul_lo_u32 v12, s25, v8
	v_mad_u64_u32 v[6:7], null, s24, v8, v[112:113]
	v_cmp_ge_u64_e64 s2, s[22:23], s[10:11]
	v_add3_u32 v2, v10, v5, v9
	s_delay_alu instid0(VALU_DEP_3) | instskip(NEXT) | instid1(VALU_DEP_4)
	v_dual_mov_b32 v1, v4 :: v_dual_mov_b32 v112, v6
	v_add3_u32 v113, v12, v7, v11
	s_delay_alu instid0(VALU_DEP_4)
	s_and_b32 vcc_lo, exec_lo, s2
	s_cbranch_vccnz .LBB0_9
; %bb.7:                                ;   in Loop: Header=BB0_2 Depth=1
	v_dual_mov_b32 v5, v116 :: v_dual_mov_b32 v6, v117
	s_branch .LBB0_2
.LBB0_8:
	v_dual_mov_b32 v113, v2 :: v_dual_mov_b32 v112, v1
	v_dual_mov_b32 v117, v6 :: v_dual_mov_b32 v116, v5
.LBB0_9:
	s_load_b64 s[0:1], s[0:1], 0x28
	v_mul_hi_u32 v3, 0x295fad5, v0
	s_lshl_b64 s[10:11], s[10:11], 3
                                        ; implicit-def: $vgpr114
                                        ; implicit-def: $vgpr118
	s_delay_alu instid0(SALU_CYCLE_1) | instskip(SKIP_4) | instid1(VALU_DEP_1)
	s_add_u32 s2, s18, s10
	s_addc_u32 s3, s19, s11
	s_waitcnt lgkmcnt(0)
	v_cmp_gt_u64_e32 vcc_lo, s[0:1], v[116:117]
	v_cmp_le_u64_e64 s0, s[0:1], v[116:117]
	s_and_saveexec_b32 s1, s0
	s_delay_alu instid0(SALU_CYCLE_1)
	s_xor_b32 s0, exec_lo, s1
; %bb.10:
	v_mul_u32_u24_e32 v1, 0x63, v3
                                        ; implicit-def: $vgpr3
	s_delay_alu instid0(VALU_DEP_1) | instskip(NEXT) | instid1(VALU_DEP_1)
	v_sub_nc_u32_e32 v114, v0, v1
                                        ; implicit-def: $vgpr0
                                        ; implicit-def: $vgpr1_vgpr2
	v_add_nc_u32_e32 v118, 0x63, v114
; %bb.11:
	s_and_not1_saveexec_b32 s1, s0
	s_cbranch_execz .LBB0_13
; %bb.12:
	s_add_u32 s10, s16, s10
	s_addc_u32 s11, s17, s11
	v_lshlrev_b64 v[1:2], 4, v[1:2]
	s_load_b64 s[10:11], s[10:11], 0x0
	s_waitcnt lgkmcnt(0)
	v_mul_lo_u32 v6, s11, v116
	v_mul_lo_u32 v7, s10, v117
	v_mad_u64_u32 v[4:5], null, s10, v116, 0
	s_delay_alu instid0(VALU_DEP_1) | instskip(SKIP_1) | instid1(VALU_DEP_2)
	v_add3_u32 v5, v5, v7, v6
	v_mul_u32_u24_e32 v6, 0x63, v3
	v_lshlrev_b64 v[3:4], 4, v[4:5]
	s_delay_alu instid0(VALU_DEP_2) | instskip(NEXT) | instid1(VALU_DEP_1)
	v_sub_nc_u32_e32 v114, v0, v6
	v_lshlrev_b32_e32 v72, 4, v114
	s_delay_alu instid0(VALU_DEP_3) | instskip(NEXT) | instid1(VALU_DEP_1)
	v_add_co_u32 v0, s0, s4, v3
	v_add_co_ci_u32_e64 v3, s0, s5, v4, s0
	v_add_nc_u32_e32 v118, 0x63, v114
	s_delay_alu instid0(VALU_DEP_3) | instskip(NEXT) | instid1(VALU_DEP_1)
	v_add_co_u32 v0, s0, v0, v1
	v_add_co_ci_u32_e64 v1, s0, v3, v2, s0
	s_delay_alu instid0(VALU_DEP_2) | instskip(NEXT) | instid1(VALU_DEP_1)
	v_add_co_u32 v8, s0, v0, v72
	v_add_co_ci_u32_e64 v9, s0, 0, v1, s0
	s_clause 0x1
	global_load_b128 v[0:3], v[8:9], off
	global_load_b128 v[4:7], v[8:9], off offset:1584
	v_add_co_u32 v20, s0, 0x1000, v8
	s_delay_alu instid0(VALU_DEP_1) | instskip(SKIP_1) | instid1(VALU_DEP_1)
	v_add_co_ci_u32_e64 v21, s0, 0, v9, s0
	v_add_co_u32 v28, s0, 0x2000, v8
	v_add_co_ci_u32_e64 v29, s0, 0, v9, s0
	v_add_co_u32 v40, s0, 0x3000, v8
	s_delay_alu instid0(VALU_DEP_1) | instskip(SKIP_1) | instid1(VALU_DEP_1)
	v_add_co_ci_u32_e64 v41, s0, 0, v9, s0
	v_add_co_u32 v48, s0, 0x4000, v8
	v_add_co_ci_u32_e64 v49, s0, 0, v9, s0
	;; [unrolled: 5-line block ×3, first 2 shown]
	s_clause 0xf
	global_load_b128 v[8:11], v[8:9], off offset:3168
	global_load_b128 v[12:15], v[20:21], off offset:656
	;; [unrolled: 1-line block ×16, first 2 shown]
	v_add_nc_u32_e32 v72, 0, v72
	s_waitcnt vmcnt(17)
	ds_store_b128 v72, v[0:3]
	s_waitcnt vmcnt(16)
	ds_store_b128 v72, v[4:7] offset:1584
	s_waitcnt vmcnt(15)
	ds_store_b128 v72, v[8:11] offset:3168
	;; [unrolled: 2-line block ×17, first 2 shown]
.LBB0_13:
	s_or_b32 exec_lo, exec_lo, s1
	v_lshl_add_u32 v120, v114, 4, 0
	s_load_b64 s[2:3], s[2:3], 0x0
	s_waitcnt lgkmcnt(0)
	s_barrier
	buffer_gl0_inv
	ds_load_b128 v[20:23], v120 offset:2592
	ds_load_b128 v[44:47], v120
	ds_load_b128 v[0:3], v120 offset:1584
	ds_load_b128 v[24:27], v120 offset:4176
	;; [unrolled: 1-line block ×15, first 2 shown]
	s_mov_b32 s10, 0xf8bb580b
	s_mov_b32 s16, 0x8eee2c13
	;; [unrolled: 1-line block ×8, first 2 shown]
	s_waitcnt lgkmcnt(15)
	v_add_f64 v[4:5], v[44:45], v[20:21]
	v_add_f64 v[6:7], v[46:47], v[22:23]
	s_mov_b32 s13, 0xbfe82f19
	s_mov_b32 s5, 0xbfd207e7
	s_waitcnt lgkmcnt(7)
	v_add_f64 v[36:37], v[22:23], -v[50:51]
	v_add_f64 v[38:39], v[20:21], -v[48:49]
	v_add_f64 v[92:93], v[20:21], v[48:49]
	v_add_f64 v[94:95], v[22:23], v[50:51]
	s_waitcnt lgkmcnt(3)
	v_add_f64 v[88:89], v[58:59], -v[54:55]
	v_add_f64 v[90:91], v[56:57], -v[52:53]
	s_mov_b32 s14, 0x8764f0ba
	s_mov_b32 s22, 0xd9c712b6
	;; [unrolled: 1-line block ×16, first 2 shown]
	s_waitcnt lgkmcnt(2)
	v_add_f64 v[127:128], v[62:63], v[74:75]
	s_waitcnt lgkmcnt(0)
	v_add_f64 v[129:130], v[64:65], v[80:81]
	v_add_f64 v[131:132], v[66:67], v[82:83]
	;; [unrolled: 1-line block ×3, first 2 shown]
	s_mov_b32 s37, 0x3fed1bb4
	s_mov_b32 s36, s16
	v_add_f64 v[125:126], v[60:61], v[72:73]
	s_mov_b32 s33, exec_lo
	v_add_f64 v[4:5], v[4:5], v[56:57]
	v_add_f64 v[6:7], v[6:7], v[58:59]
	v_add_f64 v[56:57], v[56:57], v[52:53]
	v_add_f64 v[58:59], v[58:59], v[54:55]
	v_mul_f64 v[96:97], v[36:37], s[10:11]
	v_mul_f64 v[98:99], v[38:39], s[10:11]
	;; [unrolled: 1-line block ×15, first 2 shown]
	v_add_f64 v[4:5], v[4:5], v[60:61]
	v_add_f64 v[6:7], v[6:7], v[62:63]
	v_add_f64 v[62:63], v[62:63], -v[74:75]
	v_add_f64 v[60:61], v[60:61], -v[72:73]
	v_fma_f64 v[141:142], v[92:93], s[14:15], -v[96:97]
	v_fma_f64 v[143:144], v[94:95], s[14:15], v[98:99]
	v_fma_f64 v[96:97], v[92:93], s[14:15], v[96:97]
	v_fma_f64 v[98:99], v[94:95], s[14:15], -v[98:99]
	v_fma_f64 v[145:146], v[92:93], s[22:23], -v[100:101]
	v_fma_f64 v[147:148], v[94:95], s[22:23], v[102:103]
	v_fma_f64 v[100:101], v[92:93], s[22:23], v[100:101]
	v_fma_f64 v[102:103], v[94:95], s[22:23], -v[102:103]
	;; [unrolled: 4-line block ×5, first 2 shown]
	v_mul_f64 v[121:122], v[90:91], s[28:29]
	v_add_f64 v[123:124], v[68:69], v[76:77]
	v_fma_f64 v[165:166], v[58:59], s[20:21], v[137:138]
	v_fma_f64 v[137:138], v[58:59], s[20:21], -v[137:138]
	v_fma_f64 v[167:168], v[56:57], s[18:19], -v[139:140]
	v_add_f64 v[8:9], v[4:5], v[64:65]
	v_add_f64 v[10:11], v[6:7], v[66:67]
	v_add_f64 v[64:65], v[64:65], -v[80:81]
	v_add_f64 v[66:67], v[66:67], -v[82:83]
	v_add_f64 v[141:142], v[44:45], v[141:142]
	v_add_f64 v[143:144], v[46:47], v[143:144]
	;; [unrolled: 1-line block ×20, first 2 shown]
	v_fma_f64 v[92:93], v[58:59], s[18:19], v[121:122]
	v_fma_f64 v[94:95], v[56:57], s[18:19], v[139:140]
	v_fma_f64 v[121:122], v[58:59], s[18:19], -v[121:122]
	v_fma_f64 v[139:140], v[56:57], s[26:27], -v[163:164]
	v_mul_f64 v[171:172], v[62:63], s[36:37]
	v_mul_f64 v[173:174], v[62:63], s[10:11]
	;; [unrolled: 1-line block ×6, first 2 shown]
	ds_load_b128 v[4:7], v120 offset:27504
	v_add_f64 v[84:85], v[8:9], v[68:69]
	v_add_f64 v[86:87], v[10:11], v[70:71]
	ds_load_b128 v[8:11], v120 offset:24912
	v_add_f64 v[68:69], v[68:69], -v[76:77]
	v_add_f64 v[70:71], v[70:71], -v[78:79]
	v_mul_f64 v[203:204], v[66:67], s[10:11]
	v_mul_f64 v[205:206], v[66:67], s[4:5]
	;; [unrolled: 1-line block ×6, first 2 shown]
	v_add_f64 v[102:103], v[137:138], v[102:103]
	ds_load_b128 v[40:43], v120 offset:17136
	ds_load_b128 v[36:39], v120 offset:19728
	;; [unrolled: 1-line block ×3, first 2 shown]
	s_waitcnt lgkmcnt(0)
	s_barrier
	buffer_gl0_inv
	v_add_f64 v[92:93], v[92:93], v[151:152]
	v_add_f64 v[94:95], v[94:95], v[104:105]
	;; [unrolled: 1-line block ×4, first 2 shown]
	v_fma_f64 v[179:180], v[125:126], s[22:23], -v[171:172]
	v_fma_f64 v[171:172], v[125:126], s[22:23], v[171:172]
	v_fma_f64 v[181:182], v[125:126], s[14:15], -v[173:174]
	v_fma_f64 v[173:174], v[125:126], s[14:15], v[173:174]
	;; [unrolled: 2-line block ×3, first 2 shown]
	v_fma_f64 v[195:196], v[127:128], s[22:23], v[187:188]
	v_fma_f64 v[187:188], v[127:128], s[22:23], -v[187:188]
	v_fma_f64 v[197:198], v[127:128], s[14:15], v[189:190]
	v_fma_f64 v[189:190], v[127:128], s[14:15], -v[189:190]
	v_add_f64 v[84:85], v[84:85], v[76:77]
	v_add_f64 v[86:87], v[86:87], v[78:79]
	v_mul_f64 v[76:77], v[88:89], s[30:31]
	v_mul_f64 v[78:79], v[90:91], s[16:17]
	v_fma_f64 v[88:89], v[56:57], s[22:23], -v[133:134]
	v_fma_f64 v[199:200], v[127:128], s[20:21], v[191:192]
	v_fma_f64 v[191:192], v[127:128], s[20:21], -v[191:192]
	v_fma_f64 v[211:212], v[129:130], s[14:15], -v[203:204]
	v_fma_f64 v[203:204], v[129:130], s[14:15], v[203:204]
	v_fma_f64 v[213:214], v[129:130], s[18:19], -v[205:206]
	v_fma_f64 v[205:206], v[129:130], s[18:19], v[205:206]
	;; [unrolled: 2-line block ×3, first 2 shown]
	v_fma_f64 v[227:228], v[131:132], s[14:15], v[219:220]
	v_fma_f64 v[219:220], v[131:132], s[14:15], -v[219:220]
	v_fma_f64 v[229:230], v[131:132], s[18:19], v[221:222]
	v_fma_f64 v[221:222], v[131:132], s[18:19], -v[221:222]
	;; [unrolled: 2-line block ×3, first 2 shown]
	v_add_f64 v[94:95], v[171:172], v[94:95]
	v_add_f64 v[106:107], v[181:182], v[106:107]
	;; [unrolled: 1-line block ×6, first 2 shown]
	v_mul_f64 v[84:85], v[90:91], s[34:35]
	v_mul_f64 v[86:87], v[90:91], s[30:31]
	v_fma_f64 v[90:91], v[56:57], s[20:21], -v[135:136]
	v_fma_f64 v[135:136], v[56:57], s[20:21], v[135:136]
	v_fma_f64 v[169:170], v[58:59], s[22:23], v[78:79]
	v_add_f64 v[88:89], v[88:89], v[141:142]
	v_add_f64 v[141:142], v[165:166], v[147:148]
	;; [unrolled: 1-line block ×8, first 2 shown]
	v_fma_f64 v[80:81], v[58:59], s[26:27], v[84:85]
	v_fma_f64 v[82:83], v[56:57], s[26:27], v[163:164]
	v_fma_f64 v[84:85], v[58:59], s[26:27], -v[84:85]
	v_fma_f64 v[163:164], v[56:57], s[14:15], -v[76:77]
	v_fma_f64 v[76:77], v[56:57], s[14:15], v[76:77]
	v_fma_f64 v[56:57], v[56:57], s[22:23], v[133:134]
	v_fma_f64 v[133:134], v[58:59], s[14:15], v[86:87]
	v_fma_f64 v[86:87], v[58:59], s[14:15], -v[86:87]
	v_fma_f64 v[58:59], v[58:59], s[22:23], -v[78:79]
	v_mul_f64 v[78:79], v[62:63], s[28:29]
	v_mul_f64 v[62:63], v[62:63], s[24:25]
	v_add_f64 v[90:91], v[90:91], v[145:146]
	v_add_f64 v[100:101], v[135:136], v[100:101]
	;; [unrolled: 1-line block ×9, first 2 shown]
	v_mul_f64 v[76:77], v[70:71], s[30:31]
	v_add_f64 v[46:47], v[86:87], v[46:47]
	v_add_f64 v[58:59], v[58:59], v[98:99]
	v_fma_f64 v[177:178], v[125:126], s[18:19], -v[78:79]
	v_fma_f64 v[78:79], v[125:126], s[18:19], v[78:79]
	v_fma_f64 v[185:186], v[125:126], s[26:27], -v[62:63]
	v_fma_f64 v[62:63], v[125:126], s[26:27], v[62:63]
	v_mul_f64 v[125:126], v[60:61], s[28:29]
	v_mul_f64 v[60:61], v[60:61], s[24:25]
	;; [unrolled: 1-line block ×6, first 2 shown]
	v_add_f64 v[110:111], v[133:134], v[159:160]
	v_add_f64 v[155:156], v[72:73], v[52:53]
	v_add_f64 v[157:158], v[74:75], v[54:55]
	v_add_f64 v[80:81], v[197:198], v[80:81]
	v_add_f64 v[82:83], v[173:174], v[82:83]
	v_add_f64 v[84:85], v[189:190], v[84:85]
	v_add_f64 v[108:109], v[183:184], v[108:109]
	v_add_f64 v[44:45], v[175:176], v[44:45]
	v_fma_f64 v[121:122], v[123:124], s[14:15], -v[76:77]
	v_fma_f64 v[76:77], v[123:124], s[14:15], v[76:77]
	v_add_f64 v[46:47], v[191:192], v[46:47]
	v_add_f64 v[90:91], v[177:178], v[90:91]
	;; [unrolled: 1-line block ×4, first 2 shown]
	v_fma_f64 v[193:194], v[127:128], s[18:19], v[125:126]
	v_fma_f64 v[125:126], v[127:128], s[18:19], -v[125:126]
	v_fma_f64 v[201:202], v[127:128], s[26:27], v[60:61]
	v_fma_f64 v[60:61], v[127:128], s[26:27], -v[60:61]
	v_mul_f64 v[127:128], v[66:67], s[34:35]
	v_mul_f64 v[66:67], v[66:67], s[12:13]
	v_fma_f64 v[133:134], v[123:124], s[20:21], -v[86:87]
	v_fma_f64 v[86:87], v[123:124], s[20:21], v[86:87]
	v_fma_f64 v[137:138], v[123:124], s[22:23], -v[96:97]
	v_fma_f64 v[96:97], v[123:124], s[22:23], v[96:97]
	;; [unrolled: 2-line block ×3, first 2 shown]
	v_mul_f64 v[62:63], v[68:69], s[12:13]
	v_add_f64 v[110:111], v[199:200], v[110:111]
	v_add_f64 v[48:49], v[155:156], v[48:49]
	;; [unrolled: 1-line block ×9, first 2 shown]
	v_fma_f64 v[209:210], v[129:130], s[26:27], -v[127:128]
	v_fma_f64 v[127:128], v[129:130], s[26:27], v[127:128]
	v_fma_f64 v[217:218], v[129:130], s[20:21], -v[66:67]
	v_fma_f64 v[66:67], v[129:130], s[20:21], v[66:67]
	v_mul_f64 v[129:130], v[64:65], s[34:35]
	v_mul_f64 v[64:65], v[64:65], s[12:13]
	;; [unrolled: 1-line block ×6, first 2 shown]
	v_fma_f64 v[145:146], v[161:162], s[20:21], v[62:63]
	v_fma_f64 v[147:148], v[161:162], s[20:21], -v[62:63]
	v_add_f64 v[110:111], v[231:232], v[110:111]
	v_add_f64 v[73:74], v[96:97], v[82:83]
	;; [unrolled: 1-line block ×6, first 2 shown]
	v_fma_f64 v[225:226], v[131:132], s[26:27], v[129:130]
	v_fma_f64 v[129:130], v[131:132], s[26:27], -v[129:130]
	v_fma_f64 v[233:234], v[131:132], s[20:21], v[64:65]
	v_fma_f64 v[64:65], v[131:132], s[20:21], -v[64:65]
	v_add_f64 v[131:132], v[169:170], v[143:144]
	v_fma_f64 v[143:144], v[123:124], s[18:19], -v[70:71]
	v_fma_f64 v[123:124], v[123:124], s[18:19], v[70:71]
	v_add_f64 v[70:71], v[185:186], v[88:89]
	v_fma_f64 v[62:63], v[161:162], s[18:19], v[68:69]
	v_fma_f64 v[153:154], v[161:162], s[18:19], -v[68:69]
	v_fma_f64 v[149:150], v[161:162], s[22:23], v[125:126]
	v_fma_f64 v[151:152], v[161:162], s[26:27], v[135:136]
	v_fma_f64 v[135:136], v[161:162], s[26:27], -v[135:136]
	v_fma_f64 v[125:126], v[161:162], s[22:23], -v[125:126]
	v_add_f64 v[56:57], v[76:77], v[78:79]
	v_add_f64 v[77:78], v[139:140], v[108:109]
	v_add_f64 v[100:101], v[129:130], v[100:101]
	v_add_f64 v[129:130], v[223:224], v[46:47]
	v_add_f64 v[88:89], v[201:202], v[131:132]
	v_add_f64 v[131:132], v[193:194], v[141:142]
	v_fma_f64 v[141:142], v[161:162], s[14:15], v[60:61]
	v_add_f64 v[68:69], v[217:218], v[70:71]
	v_fma_f64 v[60:61], v[161:162], s[14:15], -v[60:61]
	v_add_f64 v[161:162], v[64:65], v[58:59]
	v_add_f64 v[65:66], v[86:87], v[94:95]
	v_mad_u32_u24 v64, 0xa0, v114, v120
	v_add_f64 v[70:71], v[233:234], v[88:89]
	v_add_f64 v[88:89], v[209:210], v[90:91]
	;; [unrolled: 1-line block ×20, first 2 shown]
	ds_store_b128 v64, v[52:55] offset:32
	ds_store_b128 v64, v[60:63] offset:48
	;; [unrolled: 1-line block ×8, first 2 shown]
	ds_store_b128 v64, v[48:51]
	ds_store_b128 v64, v[44:47] offset:16
	ds_store_b128 v64, v[85:88] offset:160
	v_cmpx_gt_u32_e32 63, v114
	s_cbranch_execz .LBB0_15
; %bb.14:
	v_add_f64 v[44:45], v[2:3], v[26:27]
	v_add_f64 v[46:47], v[0:1], v[24:25]
	;; [unrolled: 1-line block ×3, first 2 shown]
	v_add_f64 v[56:57], v[34:35], -v[10:11]
	v_add_f64 v[52:53], v[26:27], v[6:7]
	v_add_f64 v[58:59], v[26:27], -v[6:7]
	v_add_f64 v[48:49], v[14:15], v[22:23]
	v_add_f64 v[54:55], v[14:15], -v[22:23]
	v_add_f64 v[65:66], v[12:13], -v[20:21]
	v_add_f64 v[71:72], v[12:13], v[20:21]
	v_add_f64 v[69:70], v[24:25], -v[4:5]
	v_add_f64 v[24:25], v[24:25], v[4:5]
	s_mov_b32 s1, 0x3fe82f19
	s_mov_b32 s0, s12
	v_add_f64 v[67:68], v[32:33], -v[8:9]
	v_add_f64 v[77:78], v[18:19], -v[42:43]
	;; [unrolled: 1-line block ×5, first 2 shown]
	v_add_f64 v[75:76], v[16:17], v[40:41]
	v_add_f64 v[79:80], v[28:29], v[36:37]
	;; [unrolled: 1-line block ×6, first 2 shown]
	v_mul_f64 v[83:84], v[50:51], s[14:15]
	v_mul_f64 v[85:86], v[52:53], s[18:19]
	;; [unrolled: 1-line block ×18, first 2 shown]
	v_add_f64 v[46:47], v[30:31], v[38:39]
	v_mul_f64 v[81:82], v[48:49], s[20:21]
	v_mul_f64 v[87:88], v[54:55], s[12:13]
	;; [unrolled: 1-line block ×16, first 2 shown]
	v_add_f64 v[14:15], v[34:35], v[14:15]
	v_add_f64 v[12:13], v[44:45], v[12:13]
	v_mul_f64 v[34:35], v[56:57], s[34:35]
	v_mul_f64 v[56:57], v[56:57], s[16:17]
	v_fma_f64 v[167:168], v[69:70], s[28:29], v[85:86]
	v_fma_f64 v[173:174], v[24:25], s[18:19], v[91:92]
	;; [unrolled: 1-line block ×3, first 2 shown]
	v_fma_f64 v[91:92], v[24:25], s[18:19], -v[91:92]
	v_fma_f64 v[177:178], v[69:70], s[0:1], v[95:96]
	v_fma_f64 v[179:180], v[24:25], s[20:21], v[97:98]
	;; [unrolled: 1-line block ×3, first 2 shown]
	v_fma_f64 v[97:98], v[24:25], s[20:21], -v[97:98]
	v_fma_f64 v[181:182], v[69:70], s[34:35], v[103:104]
	v_fma_f64 v[103:104], v[69:70], s[24:25], v[103:104]
	;; [unrolled: 1-line block ×5, first 2 shown]
	v_fma_f64 v[109:110], v[24:25], s[22:23], -v[109:110]
	v_fma_f64 v[183:184], v[24:25], s[26:27], v[105:106]
	v_fma_f64 v[105:106], v[24:25], s[26:27], -v[105:106]
	v_fma_f64 v[189:190], v[69:70], s[30:31], v[52:53]
	v_fma_f64 v[191:192], v[24:25], s[14:15], v[58:59]
	;; [unrolled: 1-line block ×3, first 2 shown]
	v_fma_f64 v[24:25], v[24:25], s[14:15], -v[58:59]
	v_mul_f64 v[44:45], v[48:49], s[22:23]
	v_fma_f64 v[171:172], v[32:33], s[14:15], v[89:90]
	v_fma_f64 v[89:90], v[32:33], s[14:15], -v[89:90]
	v_fma_f64 v[58:59], v[67:68], s[24:25], v[99:100]
	v_fma_f64 v[99:100], v[67:68], s[34:35], v[99:100]
	v_fma_f64 v[197:198], v[32:33], s[18:19], v[125:126]
	v_fma_f64 v[125:126], v[32:33], s[18:19], -v[125:126]
	v_fma_f64 v[199:200], v[67:68], s[0:1], v[129:130]
	v_fma_f64 v[201:202], v[32:33], s[20:21], v[133:134]
	;; [unrolled: 4-line block ×3, first 2 shown]
	v_mul_f64 v[48:49], v[48:49], s[26:27]
	v_add_f64 v[14:15], v[14:15], v[30:31]
	v_add_f64 v[12:13], v[12:13], v[28:29]
	v_mul_f64 v[28:29], v[77:78], s[4:5]
	v_fma_f64 v[77:78], v[67:68], s[10:11], v[83:84]
	v_fma_f64 v[83:84], v[67:68], s[30:31], v[83:84]
	;; [unrolled: 1-line block ×3, first 2 shown]
	v_add_f64 v[85:86], v[2:3], v[85:86]
	v_add_f64 v[91:92], v[0:1], v[91:92]
	v_mul_f64 v[135:136], v[46:47], s[22:23]
	v_mul_f64 v[143:144], v[46:47], s[14:15]
	v_add_f64 v[95:96], v[2:3], v[95:96]
	v_add_f64 v[97:98], v[0:1], v[97:98]
	v_mul_f64 v[147:148], v[46:47], s[26:27]
	v_add_f64 v[103:104], v[2:3], v[103:104]
	v_fma_f64 v[30:31], v[65:66], s[0:1], v[81:82]
	v_fma_f64 v[169:170], v[71:72], s[20:21], v[87:88]
	v_add_f64 v[107:108], v[2:3], v[107:108]
	v_add_f64 v[109:110], v[0:1], v[109:110]
	v_fma_f64 v[81:82], v[65:66], s[12:13], v[81:82]
	v_add_f64 v[105:106], v[0:1], v[105:106]
	v_fma_f64 v[87:88], v[71:72], s[20:21], -v[87:88]
	v_fma_f64 v[195:196], v[71:72], s[22:23], v[123:124]
	v_fma_f64 v[123:124], v[71:72], s[22:23], -v[123:124]
	v_add_f64 v[24:25], v[0:1], v[24:25]
	v_mul_f64 v[139:140], v[46:47], s[18:19]
	v_fma_f64 v[175:176], v[65:66], s[30:31], v[93:94]
	v_fma_f64 v[69:70], v[71:72], s[14:15], v[101:102]
	;; [unrolled: 1-line block ×3, first 2 shown]
	v_fma_f64 v[101:102], v[71:72], s[14:15], -v[101:102]
	v_mul_f64 v[46:47], v[46:47], s[20:21]
	v_mul_f64 v[60:61], v[60:61], s[12:13]
	;; [unrolled: 1-line block ×7, first 2 shown]
	v_fma_f64 v[205:206], v[79:80], s[18:19], v[141:142]
	v_fma_f64 v[141:142], v[79:80], s[18:19], -v[141:142]
	v_add_f64 v[14:15], v[14:15], v[18:19]
	v_add_f64 v[12:13], v[12:13], v[16:17]
	v_fma_f64 v[16:17], v[32:33], s[26:27], -v[34:35]
	v_fma_f64 v[34:35], v[67:68], s[4:5], v[121:122]
	v_fma_f64 v[121:122], v[67:68], s[28:29], v[121:122]
	v_fma_f64 v[67:68], v[32:33], s[22:23], v[56:57]
	v_fma_f64 v[32:33], v[32:33], s[22:23], -v[56:57]
	v_add_f64 v[56:57], v[2:3], v[167:168]
	v_add_f64 v[167:168], v[0:1], v[173:174]
	;; [unrolled: 1-line block ×11, first 2 shown]
	v_fma_f64 v[18:19], v[65:66], s[16:17], v[44:45]
	v_fma_f64 v[44:45], v[65:66], s[36:37], v[44:45]
	;; [unrolled: 1-line block ×3, first 2 shown]
	v_add_f64 v[83:84], v[83:84], v[85:86]
	v_add_f64 v[85:86], v[89:90], v[91:92]
	;; [unrolled: 1-line block ×4, first 2 shown]
	v_fma_f64 v[189:190], v[79:80], s[22:23], v[137:138]
	v_fma_f64 v[133:134], v[79:80], s[26:27], -v[149:150]
	v_fma_f64 v[191:192], v[73:74], s[28:29], v[139:140]
	v_fma_f64 v[139:140], v[73:74], s[4:5], v[139:140]
	v_fma_f64 v[137:138], v[79:80], s[22:23], -v[137:138]
	v_add_f64 v[14:15], v[14:15], v[42:43]
	v_add_f64 v[12:13], v[12:13], v[40:41]
	v_fma_f64 v[40:41], v[65:66], s[4:5], v[127:128]
	v_fma_f64 v[127:128], v[71:72], s[18:19], -v[131:132]
	v_add_f64 v[16:17], v[16:17], v[97:98]
	v_add_f64 v[95:96], v[121:122], v[103:104]
	;; [unrolled: 1-line block ×10, first 2 shown]
	v_fma_f64 v[42:43], v[71:72], s[18:19], v[131:132]
	v_add_f64 v[107:108], v[199:200], v[183:184]
	v_add_f64 v[109:110], v[201:202], v[185:186]
	v_fma_f64 v[131:132], v[65:66], s[34:35], v[48:49]
	v_fma_f64 v[48:49], v[65:66], s[24:25], v[48:49]
	;; [unrolled: 1-line block ×3, first 2 shown]
	v_fma_f64 v[54:55], v[71:72], s[26:27], -v[54:55]
	v_add_f64 v[2:3], v[50:51], v[2:3]
	v_add_f64 v[24:25], v[32:33], v[24:25]
	;; [unrolled: 1-line block ×4, first 2 shown]
	v_fma_f64 v[71:72], v[73:74], s[16:17], v[135:136]
	v_fma_f64 v[135:136], v[73:74], s[36:37], v[135:136]
	;; [unrolled: 1-line block ×3, first 2 shown]
	v_fma_f64 v[50:51], v[79:80], s[14:15], -v[145:146]
	v_fma_f64 v[32:33], v[73:74], s[30:31], v[143:144]
	v_fma_f64 v[67:68], v[73:74], s[24:25], v[147:148]
	v_fma_f64 v[125:126], v[79:80], s[26:27], v[149:150]
	v_fma_f64 v[147:148], v[26:27], s[24:25], v[151:152]
	v_fma_f64 v[149:150], v[75:76], s[26:27], -v[153:154]
	v_add_f64 v[14:15], v[14:15], v[38:39]
	v_add_f64 v[12:13], v[12:13], v[36:37]
	v_fma_f64 v[38:39], v[73:74], s[10:11], v[143:144]
	v_fma_f64 v[36:37], v[79:80], s[14:15], v[145:146]
	v_add_f64 v[16:17], v[101:102], v[16:17]
	v_fma_f64 v[143:144], v[73:74], s[0:1], v[46:47]
	v_fma_f64 v[46:47], v[73:74], s[12:13], v[46:47]
	v_add_f64 v[30:31], v[30:31], v[56:57]
	v_add_f64 v[56:57], v[169:170], v[77:78]
	;; [unrolled: 1-line block ×15, first 2 shown]
	v_fma_f64 v[73:74], v[79:80], s[20:21], v[60:61]
	v_fma_f64 v[60:61], v[79:80], s[20:21], -v[60:61]
	v_add_f64 v[2:3], v[48:49], v[2:3]
	v_add_f64 v[24:25], v[54:55], v[24:25]
	;; [unrolled: 1-line block ×4, first 2 shown]
	v_fma_f64 v[79:80], v[26:27], s[34:35], v[151:152]
	v_fma_f64 v[145:146], v[75:76], s[26:27], v[153:154]
	;; [unrolled: 1-line block ×3, first 2 shown]
	v_fma_f64 v[54:55], v[75:76], s[22:23], -v[157:158]
	v_fma_f64 v[65:66], v[26:27], s[0:1], v[159:160]
	v_fma_f64 v[91:92], v[75:76], s[20:21], v[161:162]
	;; [unrolled: 1-line block ×3, first 2 shown]
	v_fma_f64 v[95:96], v[75:76], s[20:21], -v[161:162]
	v_fma_f64 v[97:98], v[26:27], s[10:11], v[163:164]
	v_fma_f64 v[99:100], v[75:76], s[14:15], v[165:166]
	v_add_f64 v[14:15], v[14:15], v[22:23]
	v_add_f64 v[12:13], v[12:13], v[20:21]
	v_fma_f64 v[20:21], v[26:27], s[16:17], v[155:156]
	v_fma_f64 v[22:23], v[75:76], s[22:23], v[157:158]
	;; [unrolled: 1-line block ×3, first 2 shown]
	v_fma_f64 v[103:104], v[75:76], s[14:15], -v[165:166]
	v_fma_f64 v[105:106], v[26:27], s[28:29], v[62:63]
	v_fma_f64 v[107:108], v[75:76], s[18:19], v[28:29]
	;; [unrolled: 1-line block ×3, first 2 shown]
	v_fma_f64 v[75:76], v[75:76], s[18:19], -v[28:29]
	v_add_f64 v[26:27], v[71:72], v[30:31]
	v_add_f64 v[28:29], v[189:190], v[56:57]
	;; [unrolled: 1-line block ×42, first 2 shown]
	v_mad_i32_i24 v44, 0xb0, v118, 0
	v_add_f64 v[6:7], v[67:68], v[6:7]
	v_add_f64 v[4:5], v[77:78], v[4:5]
	ds_store_b128 v44, v[28:31] offset:32
	ds_store_b128 v44, v[24:27] offset:48
	;; [unrolled: 1-line block ×9, first 2 shown]
	ds_store_b128 v44, v[4:7]
	ds_store_b128 v44, v[36:39] offset:160
.LBB0_15:
	s_or_b32 exec_lo, exec_lo, s33
	v_and_b32_e32 v137, 0xff, v114
	v_and_b32_e32 v138, 0xff, v118
	v_add_nc_u32_e32 v115, 0xc6, v114
	v_add_nc_u32_e32 v124, 0x129, v114
	;; [unrolled: 1-line block ×3, first 2 shown]
	v_mul_lo_u16 v0, 0x75, v137
	v_mul_lo_u16 v1, 0x75, v138
	v_and_b32_e32 v125, 0xffff, v115
	v_and_b32_e32 v126, 0xffff, v124
	v_add_nc_u32_e32 v123, 0x1ef, v114
	v_lshrrev_b16 v0, 8, v0
	v_lshrrev_b16 v1, 8, v1
	v_mul_u32_u24_e32 v4, 0xba2f, v125
	v_and_b32_e32 v127, 0xffff, v119
	v_mul_u32_u24_e32 v5, 0xba2f, v126
	v_sub_nc_u16 v2, v114, v0
	v_sub_nc_u16 v3, v118, v1
	v_lshrrev_b32_e32 v139, 19, v4
	v_and_b32_e32 v128, 0xffff, v123
	v_lshrrev_b32_e32 v140, 19, v5
	v_lshrrev_b16 v2, 1, v2
	v_lshrrev_b16 v3, 1, v3
	s_waitcnt lgkmcnt(0)
	v_mul_u32_u24_e32 v4, 0xba2f, v128
	s_barrier
	v_and_b32_e32 v2, 0x7f, v2
	v_and_b32_e32 v3, 0x7f, v3
	buffer_gl0_inv
	v_lshrrev_b32_e32 v142, 19, v4
	v_mad_i32_i24 v121, 0xffffff60, v114, v64
	v_add_nc_u16 v0, v2, v0
	v_add_nc_u16 v1, v3, v1
	v_mul_u32_u24_e32 v2, 0xba2f, v127
	v_mul_lo_u16 v4, v142, 11
	v_lshl_add_u32 v122, v118, 4, 0
	v_lshrrev_b16 v129, 3, v0
	v_mul_lo_u16 v0, v139, 11
	v_lshrrev_b16 v130, 3, v1
	v_lshrrev_b32_e32 v141, 19, v2
	v_mul_lo_u16 v2, v140, 11
	v_mul_lo_u16 v1, v129, 11
	v_sub_nc_u16 v0, v115, v0
	v_mul_lo_u16 v3, v130, 11
	v_mul_lo_u16 v167, 0xf9, v137
	v_sub_nc_u16 v2, v124, v2
	v_sub_nc_u16 v1, v114, v1
	v_and_b32_e32 v131, 0xffff, v0
	v_sub_nc_u16 v3, v118, v3
	v_mul_lo_u16 v0, v141, 11
	v_and_b32_e32 v134, 0xffff, v2
	v_and_b32_e32 v132, 0xff, v1
	v_lshlrev_b32_e32 v1, 5, v131
	v_and_b32_e32 v133, 0xff, v3
	v_sub_nc_u16 v0, v119, v0
	v_sub_nc_u16 v2, v123, v4
	v_lshlrev_b32_e32 v3, 5, v132
	s_clause 0x1
	global_load_b128 v[20:23], v1, s[8:9] offset:16
	global_load_b128 v[44:47], v1, s[8:9]
	v_lshlrev_b32_e32 v1, 5, v133
	v_and_b32_e32 v135, 0xffff, v0
	v_lshlrev_b32_e32 v0, 5, v134
	s_clause 0x3
	global_load_b128 v[16:19], v3, s[8:9] offset:16
	global_load_b128 v[32:35], v3, s[8:9]
	global_load_b128 v[40:43], v1, s[8:9]
	global_load_b128 v[36:39], v1, s[8:9] offset:16
	v_and_b32_e32 v136, 0xffff, v2
	v_lshlrev_b32_e32 v1, 5, v135
	s_clause 0x1
	global_load_b128 v[52:55], v0, s[8:9]
	global_load_b128 v[48:51], v0, s[8:9] offset:16
	v_mul_lo_u16 v168, 0xf9, v138
	v_mul_u32_u24_e32 v169, 0x210, v141
	v_lshlrev_b32_e32 v0, 5, v136
	s_clause 0x3
	global_load_b128 v[28:31], v1, s[8:9]
	global_load_b128 v[24:27], v1, s[8:9] offset:16
	global_load_b128 v[60:63], v0, s[8:9]
	global_load_b128 v[56:59], v0, s[8:9] offset:16
	ds_load_b128 v[104:107], v120 offset:12672
	ds_load_b128 v[108:111], v120 offset:22176
	;; [unrolled: 1-line block ×12, first 2 shown]
	ds_load_b128 v[4:7], v120
	ds_load_b128 v[0:3], v122
	ds_load_b128 v[12:15], v121 offset:3168
	ds_load_b128 v[8:11], v121 offset:4752
	v_mul_u32_u24_e32 v170, 0x210, v142
	s_mov_b32 s4, 0xe8584caa
	s_mov_b32 s5, 0x3febb67a
	;; [unrolled: 1-line block ×4, first 2 shown]
	s_add_u32 s1, s8, 0x6eb0
	s_waitcnt vmcnt(11) lgkmcnt(14)
	v_mul_f64 v[145:146], v[110:111], v[22:23]
	s_waitcnt vmcnt(10)
	v_mul_f64 v[143:144], v[106:107], v[46:47]
	v_mul_f64 v[46:47], v[104:105], v[46:47]
	;; [unrolled: 1-line block ×3, first 2 shown]
	s_waitcnt vmcnt(9) lgkmcnt(12)
	v_mul_f64 v[149:150], v[102:103], v[18:19]
	s_waitcnt vmcnt(8)
	v_mul_f64 v[147:148], v[98:99], v[34:35]
	v_mul_f64 v[34:35], v[96:97], v[34:35]
	v_mul_f64 v[18:19], v[100:101], v[18:19]
	s_waitcnt vmcnt(7) lgkmcnt(11)
	v_mul_f64 v[151:152], v[86:87], v[42:43]
	s_waitcnt vmcnt(6) lgkmcnt(10)
	v_mul_f64 v[153:154], v[90:91], v[38:39]
	v_mul_f64 v[42:43], v[84:85], v[42:43]
	v_mul_f64 v[38:39], v[88:89], v[38:39]
	s_waitcnt vmcnt(5) lgkmcnt(9)
	v_mul_f64 v[155:156], v[74:75], v[54:55]
	s_waitcnt vmcnt(4) lgkmcnt(8)
	;; [unrolled: 6-line block ×3, first 2 shown]
	v_mul_f64 v[161:162], v[94:95], v[26:27]
	v_mul_f64 v[30:31], v[80:81], v[30:31]
	;; [unrolled: 1-line block ×3, first 2 shown]
	s_waitcnt vmcnt(1)
	v_mul_f64 v[163:164], v[66:67], v[62:63]
	s_waitcnt vmcnt(0) lgkmcnt(4)
	v_mul_f64 v[165:166], v[70:71], v[58:59]
	v_mul_f64 v[62:63], v[64:65], v[62:63]
	;; [unrolled: 1-line block ×3, first 2 shown]
	v_fma_f64 v[137:138], v[104:105], v[44:45], -v[143:144]
	v_fma_f64 v[143:144], v[108:109], v[20:21], -v[145:146]
	v_fma_f64 v[44:45], v[106:107], v[44:45], v[46:47]
	v_fma_f64 v[100:101], v[100:101], v[16:17], -v[149:150]
	v_fma_f64 v[96:97], v[96:97], v[32:33], -v[147:148]
	v_fma_f64 v[32:33], v[98:99], v[32:33], v[34:35]
	v_fma_f64 v[34:35], v[102:103], v[16:17], v[18:19]
	v_fma_f64 v[84:85], v[84:85], v[40:41], -v[151:152]
	v_fma_f64 v[88:89], v[88:89], v[36:37], -v[153:154]
	v_fma_f64 v[40:41], v[86:87], v[40:41], v[42:43]
	v_fma_f64 v[36:37], v[90:91], v[36:37], v[38:39]
	v_fma_f64 v[46:47], v[110:111], v[20:21], v[22:23]
	v_fma_f64 v[38:39], v[72:73], v[52:53], -v[155:156]
	v_fma_f64 v[42:43], v[76:77], v[48:49], -v[157:158]
	v_fma_f64 v[52:53], v[74:75], v[52:53], v[54:55]
	v_fma_f64 v[48:49], v[78:79], v[48:49], v[50:51]
	v_fma_f64 v[50:51], v[80:81], v[28:29], -v[159:160]
	v_fma_f64 v[54:55], v[92:93], v[24:25], -v[161:162]
	v_fma_f64 v[28:29], v[82:83], v[28:29], v[30:31]
	v_fma_f64 v[24:25], v[94:95], v[24:25], v[26:27]
	v_fma_f64 v[26:27], v[64:65], v[60:61], -v[163:164]
	v_fma_f64 v[30:31], v[68:69], v[56:57], -v[165:166]
	v_fma_f64 v[60:61], v[66:67], v[60:61], v[62:63]
	v_fma_f64 v[56:57], v[70:71], v[56:57], v[58:59]
	v_lshrrev_b16 v102, 13, v167
	v_lshrrev_b16 v103, 13, v168
	v_mul_u32_u24_e32 v58, 0xf83f, v125
	v_mul_u32_u24_e32 v59, 0xf83f, v126
	;; [unrolled: 1-line block ×3, first 2 shown]
	v_mul_lo_u16 v68, v102, 33
	v_mul_lo_u16 v70, v103, 33
	v_mul_u32_u24_e32 v63, 0xf83f, v128
	v_lshrrev_b32_e32 v109, 21, v58
	v_lshrrev_b32_e32 v107, 21, v59
	v_sub_nc_u16 v80, v114, v68
	v_sub_nc_u16 v82, v118, v70
	v_lshrrev_b32_e32 v108, 21, v62
	v_lshrrev_b32_e32 v106, 21, v63
	ds_load_b128 v[16:19], v121 offset:6336
	ds_load_b128 v[20:23], v121 offset:7920
	v_add_f64 v[58:59], v[137:138], v[143:144]
	v_and_b32_e32 v105, 0xff, v80
	v_and_b32_e32 v104, 0xff, v82
	v_add_f64 v[64:65], v[96:97], v[100:101]
	s_waitcnt lgkmcnt(5)
	v_add_f64 v[145:146], v[4:5], v[96:97]
	v_add_f64 v[66:67], v[32:33], v[34:35]
	;; [unrolled: 1-line block ×4, first 2 shown]
	v_mul_lo_u16 v86, v109, 33
	v_add_f64 v[70:71], v[40:41], v[36:37]
	v_add_f64 v[62:63], v[44:45], v[46:47]
	v_mul_lo_u16 v87, v107, 33
	v_add_f64 v[72:73], v[38:39], v[42:43]
	v_add_f64 v[153:154], v[32:33], -v[34:35]
	v_add_f64 v[74:75], v[52:53], v[48:49]
	v_add_f64 v[96:97], v[96:97], -v[100:101]
	v_add_f64 v[76:77], v[50:51], v[54:55]
	s_waitcnt lgkmcnt(4)
	v_add_f64 v[151:152], v[2:3], v[40:41]
	v_add_f64 v[78:79], v[28:29], v[24:25]
	;; [unrolled: 1-line block ×4, first 2 shown]
	s_waitcnt lgkmcnt(2)
	v_add_f64 v[92:93], v[8:9], v[38:39]
	v_add_f64 v[82:83], v[60:61], v[56:57]
	v_add_f64 v[155:156], v[40:41], -v[36:37]
	v_add_f64 v[84:85], v[84:85], -v[88:89]
	;; [unrolled: 1-line block ×3, first 2 shown]
	v_add_f64 v[44:45], v[14:15], v[44:45]
	v_sub_nc_u16 v173, v115, v86
	v_sub_nc_u16 v174, v124, v87
	v_add_f64 v[86:87], v[12:13], v[137:138]
	s_waitcnt lgkmcnt(1)
	v_add_f64 v[110:111], v[18:19], v[28:29]
	v_add_f64 v[137:138], v[137:138], -v[143:144]
	v_mul_u32_u24_e32 v167, 0x210, v139
	v_mul_u32_u24_e32 v168, 0x210, v140
	s_waitcnt lgkmcnt(0)
	v_add_f64 v[139:140], v[20:21], v[26:27]
	v_add_f64 v[94:95], v[10:11], v[52:53]
	v_add_f64 v[52:53], v[52:53], -v[48:49]
	v_add_f64 v[157:158], v[38:39], -v[42:43]
	v_fma_f64 v[58:59], v[58:59], -0.5, v[12:13]
	v_add_f64 v[98:99], v[16:17], v[50:51]
	v_add_f64 v[141:142], v[22:23], v[60:61]
	v_fma_f64 v[64:65], v[64:65], -0.5, v[4:5]
	v_add_f64 v[159:160], v[28:29], -v[24:25]
	v_fma_f64 v[66:67], v[66:67], -0.5, v[6:7]
	v_add_f64 v[161:162], v[50:51], -v[54:55]
	v_fma_f64 v[68:69], v[68:69], -0.5, v[0:1]
	v_add_f64 v[163:164], v[60:61], -v[56:57]
	v_fma_f64 v[70:71], v[70:71], -0.5, v[2:3]
	v_fma_f64 v[62:63], v[62:63], -0.5, v[14:15]
	v_add_f64 v[165:166], v[26:27], -v[30:31]
	v_fma_f64 v[72:73], v[72:73], -0.5, v[8:9]
	v_mul_lo_u16 v171, v108, 33
	v_fma_f64 v[74:75], v[74:75], -0.5, v[10:11]
	v_lshlrev_b32_e32 v175, 5, v105
	v_fma_f64 v[76:77], v[76:77], -0.5, v[16:17]
	v_add_f64 v[16:17], v[145:146], v[100:101]
	v_fma_f64 v[78:79], v[78:79], -0.5, v[18:19]
	v_add_f64 v[18:19], v[147:148], v[34:35]
	;; [unrolled: 2-line block ×4, first 2 shown]
	v_add_f64 v[4:5], v[92:93], v[42:43]
	v_mul_lo_u16 v172, v106, 33
	v_add_f64 v[2:3], v[44:45], v[46:47]
	v_lshlrev_b32_e32 v176, 5, v104
	v_sub_nc_u16 v171, v119, v171
	v_add_f64 v[0:1], v[86:87], v[143:144]
	v_add_f64 v[10:11], v[110:111], v[24:25]
	v_and_b32_e32 v110, 0xffff, v173
	v_and_b32_e32 v111, 0xffff, v174
	v_add_f64 v[12:13], v[139:140], v[30:31]
	v_add_f64 v[6:7], v[94:95], v[48:49]
	s_barrier
	buffer_gl0_inv
	v_fma_f64 v[24:25], v[90:91], s[4:5], v[58:59]
	v_fma_f64 v[28:29], v[90:91], s[10:11], v[58:59]
	v_add_f64 v[8:9], v[98:99], v[54:55]
	v_fma_f64 v[32:33], v[153:154], s[4:5], v[64:65]
	v_fma_f64 v[36:37], v[153:154], s[10:11], v[64:65]
	;; [unrolled: 1-line block ×14, first 2 shown]
	v_add_f64 v[14:15], v[141:142], v[56:57]
	v_fma_f64 v[56:57], v[159:160], s[4:5], v[76:77]
	v_fma_f64 v[58:59], v[161:162], s[10:11], v[78:79]
	;; [unrolled: 1-line block ×8, first 2 shown]
	v_and_b32_e32 v75, 0xffff, v129
	v_and_b32_e32 v77, 0xffff, v130
	v_lshlrev_b32_e32 v78, 4, v132
	v_lshlrev_b32_e32 v79, 4, v133
	;; [unrolled: 1-line block ×3, first 2 shown]
	v_mul_u32_u24_e32 v75, 0x210, v75
	v_mul_u32_u24_e32 v77, 0x210, v77
	v_lshlrev_b32_e32 v73, 4, v134
	v_lshlrev_b32_e32 v74, 4, v135
	;; [unrolled: 1-line block ×3, first 2 shown]
	v_add3_u32 v75, 0, v75, v78
	v_add3_u32 v77, 0, v77, v79
	;; [unrolled: 1-line block ×6, first 2 shown]
	ds_store_b128 v75, v[16:19]
	ds_store_b128 v75, v[32:35] offset:176
	ds_store_b128 v75, v[36:39] offset:352
	ds_store_b128 v77, v[20:23]
	ds_store_b128 v77, v[40:43] offset:176
	ds_store_b128 v77, v[44:47] offset:352
	;; [unrolled: 3-line block ×6, first 2 shown]
	s_waitcnt lgkmcnt(0)
	s_barrier
	buffer_gl0_inv
	s_clause 0x1
	global_load_b128 v[4:7], v175, s[8:9] offset:368
	global_load_b128 v[8:11], v175, s[8:9] offset:352
	v_sub_nc_u16 v0, v123, v172
	v_lshlrev_b32_e32 v1, 5, v110
	s_clause 0x1
	global_load_b128 v[24:27], v176, s[8:9] offset:352
	global_load_b128 v[20:23], v176, s[8:9] offset:368
	v_and_b32_e32 v129, 0xffff, v171
	v_lshlrev_b32_e32 v2, 5, v111
	v_and_b32_e32 v130, 0xffff, v0
	s_clause 0x1
	global_load_b128 v[28:31], v1, s[8:9] offset:352
	global_load_b128 v[36:39], v1, s[8:9] offset:368
	v_lshlrev_b32_e32 v0, 5, v129
	s_clause 0x1
	global_load_b128 v[40:43], v2, s[8:9] offset:352
	global_load_b128 v[32:35], v2, s[8:9] offset:368
	v_lshlrev_b32_e32 v1, 5, v130
	s_clause 0x3
	global_load_b128 v[16:19], v0, s[8:9] offset:352
	global_load_b128 v[12:15], v0, s[8:9] offset:368
	;; [unrolled: 1-line block ×4, first 2 shown]
	ds_load_b128 v[96:99], v121 offset:9504
	ds_load_b128 v[92:95], v120 offset:19008
	;; [unrolled: 1-line block ×8, first 2 shown]
	ds_load_b128 v[0:3], v122
	ds_load_b128 v[60:63], v120 offset:15840
	ds_load_b128 v[52:55], v120 offset:17424
	;; [unrolled: 1-line block ×4, first 2 shown]
	ds_load_b128 v[131:134], v120
	v_dual_mov_b32 v101, 0 :: v_dual_lshlrev_b32 v100, 1, v114
	v_mul_u32_u24_e32 v162, 0x630, v107
	v_mul_u32_u24_e32 v163, 0x630, v108
	;; [unrolled: 1-line block ×4, first 2 shown]
	s_waitcnt vmcnt(11) lgkmcnt(12)
	v_mul_f64 v[137:138], v[94:95], v[6:7]
	s_waitcnt vmcnt(10)
	v_mul_f64 v[135:136], v[98:99], v[10:11]
	v_mul_f64 v[10:11], v[96:97], v[10:11]
	;; [unrolled: 1-line block ×3, first 2 shown]
	s_waitcnt vmcnt(9) lgkmcnt(11)
	v_mul_f64 v[139:140], v[90:91], v[26:27]
	v_mul_f64 v[26:27], v[88:89], v[26:27]
	s_waitcnt vmcnt(8) lgkmcnt(10)
	v_mul_f64 v[141:142], v[86:87], v[22:23]
	v_mul_f64 v[22:23], v[84:85], v[22:23]
	;; [unrolled: 3-line block ×6, first 2 shown]
	s_waitcnt vmcnt(3) lgkmcnt(4)
	v_mul_f64 v[151:152], v[62:63], v[18:19]
	s_waitcnt vmcnt(2) lgkmcnt(2)
	v_mul_f64 v[153:154], v[66:67], v[14:15]
	v_mul_f64 v[18:19], v[60:61], v[18:19]
	;; [unrolled: 1-line block ×3, first 2 shown]
	s_waitcnt vmcnt(1)
	v_mul_f64 v[155:156], v[54:55], v[50:51]
	s_waitcnt vmcnt(0) lgkmcnt(1)
	v_mul_f64 v[157:158], v[58:59], v[46:47]
	v_mul_f64 v[50:51], v[52:53], v[50:51]
	;; [unrolled: 1-line block ×3, first 2 shown]
	v_fma_f64 v[96:97], v[96:97], v[8:9], -v[135:136]
	v_fma_f64 v[98:99], v[98:99], v[8:9], v[10:11]
	v_fma_f64 v[135:136], v[92:93], v[4:5], -v[137:138]
	v_fma_f64 v[94:95], v[94:95], v[4:5], v[6:7]
	;; [unrolled: 2-line block ×8, first 2 shown]
	v_fma_f64 v[34:35], v[60:61], v[16:17], -v[151:152]
	v_fma_f64 v[60:61], v[64:65], v[12:13], -v[153:154]
	v_fma_f64 v[62:63], v[62:63], v[16:17], v[18:19]
	v_fma_f64 v[64:65], v[66:67], v[12:13], v[14:15]
	v_fma_f64 v[52:53], v[52:53], v[48:49], -v[155:156]
	v_fma_f64 v[56:57], v[56:57], v[44:45], -v[157:158]
	v_fma_f64 v[48:49], v[54:55], v[48:49], v[50:51]
	v_fma_f64 v[44:45], v[58:59], v[44:45], v[46:47]
	v_and_b32_e32 v76, 0xffff, v102
	v_and_b32_e32 v78, 0xffff, v103
	v_lshlrev_b64 v[4:5], 4, v[100:101]
	v_mul_u32_u24_e32 v6, 0xa57f, v125
	v_mul_u32_u24_e32 v7, 0xa57f, v126
	v_mul_u32_u24_e32 v160, 0x630, v76
	v_mul_u32_u24_e32 v8, 0xa57f, v127
	v_mul_u32_u24_e32 v9, 0xa57f, v128
	v_mul_u32_u24_e32 v161, 0x630, v78
	v_add_co_u32 v92, s0, s8, v4
	s_delay_alu instid0(VALU_DEP_1)
	v_add_co_ci_u32_e64 v93, s0, s9, v5, s0
	v_lshrrev_b32_e32 v100, 22, v6
	v_lshrrev_b32_e32 v157, 22, v7
	;; [unrolled: 1-line block ×3, first 2 shown]
	v_add_f64 v[46:47], v[96:97], v[135:136]
	v_add_f64 v[50:51], v[98:99], v[94:95]
	v_lshrrev_b32_e32 v159, 22, v9
	ds_load_b128 v[4:7], v121 offset:3168
	ds_load_b128 v[8:11], v121 offset:4752
	v_add_f64 v[54:55], v[88:89], v[26:27]
	v_add_f64 v[58:59], v[24:25], v[20:21]
	ds_load_b128 v[12:15], v121 offset:6336
	ds_load_b128 v[16:19], v121 offset:7920
	s_waitcnt lgkmcnt(4)
	v_add_f64 v[82:83], v[131:132], v[96:97]
	v_add_f64 v[66:67], v[22:23], v[30:31]
	;; [unrolled: 1-line block ×4, first 2 shown]
	v_add_f64 v[84:85], v[98:99], -v[94:95]
	v_add_f64 v[70:71], v[38:39], v[42:43]
	v_add_f64 v[72:73], v[40:41], v[32:33]
	;; [unrolled: 1-line block ×4, first 2 shown]
	v_add_f64 v[96:97], v[96:97], -v[135:136]
	v_add_f64 v[76:77], v[62:63], v[64:65]
	v_add_f64 v[98:99], v[2:3], v[24:25]
	v_add_f64 v[78:79], v[52:53], v[56:57]
	v_add_f64 v[88:89], v[88:89], -v[26:27]
	v_add_f64 v[80:81], v[48:49], v[44:45]
	s_waitcnt lgkmcnt(3)
	v_add_f64 v[102:103], v[4:5], v[22:23]
	s_waitcnt lgkmcnt(2)
	v_add_f64 v[127:128], v[10:11], v[40:41]
	v_add_f64 v[107:108], v[6:7], v[28:29]
	;; [unrolled: 1-line block ×3, first 2 shown]
	v_add_f64 v[145:146], v[22:23], -v[30:31]
	s_waitcnt lgkmcnt(0)
	v_add_f64 v[143:144], v[18:19], v[48:49]
	v_add_f64 v[147:148], v[40:41], -v[32:33]
	v_add_f64 v[149:150], v[38:39], -v[42:43]
	v_add_f64 v[137:138], v[12:13], v[34:35]
	v_add_f64 v[139:140], v[14:15], v[62:63]
	;; [unrolled: 1-line block ×3, first 2 shown]
	v_add_f64 v[62:63], v[62:63], -v[64:65]
	v_add_f64 v[151:152], v[34:35], -v[60:61]
	;; [unrolled: 1-line block ×4, first 2 shown]
	v_mul_lo_u16 v100, 0x63, v100
	v_fma_f64 v[46:47], v[46:47], -0.5, v[131:132]
	v_fma_f64 v[50:51], v[50:51], -0.5, v[133:134]
	v_add_f64 v[131:132], v[24:25], -v[20:21]
	v_add_f64 v[133:134], v[28:29], -v[36:37]
	v_fma_f64 v[54:55], v[54:55], -0.5, v[0:1]
	v_fma_f64 v[58:59], v[58:59], -0.5, v[2:3]
	v_mul_lo_u16 v157, 0x63, v157
	v_add_f64 v[0:1], v[82:83], v[135:136]
	v_fma_f64 v[66:67], v[66:67], -0.5, v[4:5]
	v_fma_f64 v[68:69], v[68:69], -0.5, v[6:7]
	v_add_f64 v[2:3], v[86:87], v[94:95]
	v_fma_f64 v[70:71], v[70:71], -0.5, v[8:9]
	v_fma_f64 v[72:73], v[72:73], -0.5, v[10:11]
	v_add_f64 v[4:5], v[90:91], v[26:27]
	v_fma_f64 v[74:75], v[74:75], -0.5, v[12:13]
	s_barrier
	v_fma_f64 v[76:77], v[76:77], -0.5, v[14:15]
	v_add_f64 v[6:7], v[98:99], v[20:21]
	v_fma_f64 v[78:79], v[78:79], -0.5, v[16:17]
	buffer_gl0_inv
	v_fma_f64 v[80:81], v[80:81], -0.5, v[18:19]
	v_add_f64 v[8:9], v[102:103], v[30:31]
	v_add_f64 v[14:15], v[127:128], v[32:33]
	;; [unrolled: 1-line block ×8, first 2 shown]
	v_fma_f64 v[24:25], v[84:85], s[4:5], v[46:47]
	v_fma_f64 v[26:27], v[96:97], s[10:11], v[50:51]
	;; [unrolled: 1-line block ×24, first 2 shown]
	v_sub_nc_u16 v73, v115, v100
	v_lshlrev_b32_e32 v74, 4, v105
	v_lshlrev_b32_e32 v77, 4, v104
	v_mul_lo_u16 v72, 0x63, v158
	v_sub_nc_u16 v76, v124, v157
	v_and_b32_e32 v94, 0xffff, v73
	v_add3_u32 v73, 0, v160, v74
	v_lshlrev_b32_e32 v74, 4, v110
	v_lshlrev_b32_e32 v78, 4, v111
	;; [unrolled: 1-line block ×4, first 2 shown]
	v_mul_lo_u16 v75, 0x63, v159
	v_add3_u32 v77, 0, v161, v77
	v_add3_u32 v74, 0, v109, v74
	;; [unrolled: 1-line block ×5, first 2 shown]
	ds_store_b128 v73, v[0:3]
	ds_store_b128 v73, v[24:27] offset:528
	ds_store_b128 v73, v[28:31] offset:1056
	ds_store_b128 v77, v[4:7]
	ds_store_b128 v77, v[32:35] offset:528
	ds_store_b128 v77, v[36:39] offset:1056
	;; [unrolled: 3-line block ×6, first 2 shown]
	v_sub_nc_u16 v0, v119, v72
	v_and_b32_e32 v95, 0xffff, v76
	s_waitcnt lgkmcnt(0)
	s_barrier
	buffer_gl0_inv
	s_clause 0x1
	global_load_b128 v[4:7], v[92:93], off offset:1424
	global_load_b128 v[8:11], v[92:93], off offset:1408
	v_lshlrev_b32_e32 v1, 5, v94
	v_sub_nc_u16 v2, v123, v75
	v_and_b32_e32 v96, 0xffff, v0
	v_lshlrev_b32_e32 v0, 5, v95
	v_lshlrev_b32_e32 v100, 1, v118
	s_clause 0x1
	global_load_b128 v[16:19], v1, s[8:9] offset:1408
	global_load_b128 v[28:31], v1, s[8:9] offset:1424
	v_and_b32_e32 v97, 0xffff, v2
	v_lshlrev_b32_e32 v1, 5, v96
	s_clause 0x1
	global_load_b128 v[32:35], v0, s[8:9] offset:1408
	global_load_b128 v[20:23], v0, s[8:9] offset:1424
	v_dual_mov_b32 v119, v101 :: v_dual_lshlrev_b32 v0, 5, v97
	s_clause 0x3
	global_load_b128 v[24:27], v1, s[8:9] offset:1408
	global_load_b128 v[12:15], v1, s[8:9] offset:1424
	;; [unrolled: 1-line block ×4, first 2 shown]
	ds_load_b128 v[88:91], v121 offset:9504
	ds_load_b128 v[84:87], v120 offset:19008
	;; [unrolled: 1-line block ×8, first 2 shown]
	ds_load_b128 v[0:3], v122
	ds_load_b128 v[56:59], v120 offset:15840
	ds_load_b128 v[44:47], v120 offset:17424
	;; [unrolled: 1-line block ×4, first 2 shown]
	ds_load_b128 v[102:105], v120
	s_waitcnt vmcnt(9) lgkmcnt(12)
	v_mul_f64 v[108:109], v[86:87], v[6:7]
	s_waitcnt vmcnt(8)
	v_mul_f64 v[98:99], v[90:91], v[10:11]
	v_mul_f64 v[106:107], v[88:89], v[10:11]
	;; [unrolled: 1-line block ×3, first 2 shown]
	s_waitcnt lgkmcnt(11)
	v_mul_f64 v[123:124], v[82:83], v[10:11]
	v_mul_f64 v[10:11], v[80:81], v[10:11]
	s_waitcnt lgkmcnt(10)
	v_mul_f64 v[125:126], v[78:79], v[6:7]
	v_mul_f64 v[6:7], v[76:77], v[6:7]
	s_waitcnt vmcnt(7) lgkmcnt(9)
	v_mul_f64 v[127:128], v[74:75], v[18:19]
	v_mul_f64 v[18:19], v[72:73], v[18:19]
	s_waitcnt vmcnt(6) lgkmcnt(8)
	;; [unrolled: 3-line block ×6, first 2 shown]
	v_mul_f64 v[137:138], v[62:63], v[14:15]
	v_mul_f64 v[14:15], v[60:61], v[14:15]
	s_waitcnt vmcnt(1)
	v_mul_f64 v[139:140], v[46:47], v[42:43]
	v_mul_f64 v[42:43], v[44:45], v[42:43]
	s_waitcnt vmcnt(0) lgkmcnt(1)
	v_mul_f64 v[141:142], v[50:51], v[38:39]
	v_mul_f64 v[38:39], v[48:49], v[38:39]
	v_fma_f64 v[84:85], v[84:85], v[4:5], -v[108:109]
	v_fma_f64 v[88:89], v[88:89], v[8:9], -v[98:99]
	v_fma_f64 v[90:91], v[90:91], v[8:9], v[106:107]
	v_fma_f64 v[86:87], v[86:87], v[4:5], v[110:111]
	v_fma_f64 v[80:81], v[80:81], v[8:9], -v[123:124]
	v_fma_f64 v[82:83], v[82:83], v[8:9], v[10:11]
	v_fma_f64 v[76:77], v[76:77], v[4:5], -v[125:126]
	;; [unrolled: 2-line block ×10, first 2 shown]
	v_fma_f64 v[36:37], v[50:51], v[36:37], v[38:39]
	ds_load_b128 v[4:7], v121 offset:3168
	ds_load_b128 v[8:11], v121 offset:4752
	;; [unrolled: 1-line block ×4, first 2 shown]
	v_lshlrev_b64 v[38:39], 4, v[100:101]
	v_add_co_u32 v106, s0, 0x11e0, v92
	v_lshlrev_b32_e32 v100, 1, v115
	v_add_co_ci_u32_e64 v107, s0, 0, v93, s0
	v_add_co_u32 v92, s0, 0x1000, v92
	s_delay_alu instid0(VALU_DEP_1) | instskip(NEXT) | instid1(VALU_DEP_4)
	v_add_co_ci_u32_e64 v93, s0, 0, v93, s0
	v_lshlrev_b64 v[98:99], 4, v[100:101]
	v_add_co_u32 v100, s0, s8, v38
	v_add_f64 v[46:47], v[88:89], v[84:85]
	s_waitcnt lgkmcnt(4)
	v_add_f64 v[110:111], v[102:103], v[88:89]
	v_add_f64 v[48:49], v[90:91], v[86:87]
	v_add_f64 v[123:124], v[90:91], -v[86:87]
	v_add_f64 v[90:91], v[104:105], v[90:91]
	v_add_f64 v[50:51], v[80:81], v[76:77]
	;; [unrolled: 1-line block ×3, first 2 shown]
	v_add_f64 v[88:89], v[88:89], -v[84:85]
	s_waitcnt lgkmcnt(3)
	v_add_f64 v[131:132], v[6:7], v[74:75]
	v_add_f64 v[56:57], v[72:73], v[68:69]
	;; [unrolled: 1-line block ×7, first 2 shown]
	s_waitcnt lgkmcnt(1)
	v_add_f64 v[137:138], v[12:13], v[22:23]
	v_add_f64 v[133:134], v[8:9], v[30:31]
	;; [unrolled: 1-line block ×4, first 2 shown]
	v_add_f64 v[82:83], v[82:83], -v[78:79]
	v_add_f64 v[80:81], v[80:81], -v[76:77]
	v_add_f64 v[70:71], v[44:45], v[42:43]
	v_add_f64 v[108:109], v[40:41], v[36:37]
	s_waitcnt lgkmcnt(0)
	v_add_f64 v[143:144], v[18:19], v[40:41]
	v_add_f64 v[129:130], v[4:5], v[72:73]
	;; [unrolled: 1-line block ×4, first 2 shown]
	v_add_f64 v[74:75], v[74:75], -v[28:29]
	v_add_f64 v[72:73], v[72:73], -v[68:69]
	v_add_f64 v[139:140], v[14:15], v[24:25]
	v_add_f64 v[145:146], v[24:25], -v[52:53]
	v_add_f64 v[147:148], v[22:23], -v[26:27]
	;; [unrolled: 1-line block ×4, first 2 shown]
	v_add_co_ci_u32_e64 v115, s0, s9, v39, s0
	s_barrier
	v_fma_f64 v[46:47], v[46:47], -0.5, v[102:103]
	v_add_f64 v[102:103], v[32:33], -v[20:21]
	v_fma_f64 v[48:49], v[48:49], -0.5, v[104:105]
	v_add_f64 v[104:105], v[30:31], -v[34:35]
	buffer_gl0_inv
	v_fma_f64 v[50:51], v[50:51], -0.5, v[0:1]
	v_fma_f64 v[54:55], v[54:55], -0.5, v[2:3]
	v_add_f64 v[0:1], v[110:111], v[84:85]
	v_add_f64 v[2:3], v[90:91], v[86:87]
	v_fma_f64 v[56:57], v[56:57], -0.5, v[4:5]
	v_fma_f64 v[58:59], v[58:59], -0.5, v[6:7]
	v_add_f64 v[4:5], v[125:126], v[76:77]
	v_add_f64 v[6:7], v[127:128], v[78:79]
	v_fma_f64 v[60:61], v[60:61], -0.5, v[8:9]
	v_fma_f64 v[62:63], v[62:63], -0.5, v[10:11]
	v_add_f64 v[10:11], v[131:132], v[28:29]
	v_fma_f64 v[64:65], v[64:65], -0.5, v[12:13]
	v_fma_f64 v[66:67], v[66:67], -0.5, v[14:15]
	;; [unrolled: 3-line block ×3, first 2 shown]
	v_add_f64 v[16:17], v[137:138], v[26:27]
	v_add_f64 v[22:23], v[143:144], v[36:37]
	;; [unrolled: 1-line block ×6, first 2 shown]
	v_fma_f64 v[24:25], v[123:124], s[4:5], v[46:47]
	v_fma_f64 v[28:29], v[123:124], s[10:11], v[46:47]
	;; [unrolled: 1-line block ×24, first 2 shown]
	v_add_co_u32 v72, s0, 0x11e0, v100
	s_delay_alu instid0(VALU_DEP_1) | instskip(SKIP_1) | instid1(VALU_DEP_1)
	v_add_co_ci_u32_e64 v73, s0, 0, v115, s0
	v_add_co_u32 v78, s0, s8, v98
	v_add_co_ci_u32_e64 v79, s0, s9, v99, s0
	v_add_co_u32 v74, s0, 0x1000, v100
	s_delay_alu instid0(VALU_DEP_1) | instskip(NEXT) | instid1(VALU_DEP_4)
	v_add_co_ci_u32_e64 v75, s0, 0, v115, s0
	v_add_co_u32 v76, s0, 0x1000, v78
	s_delay_alu instid0(VALU_DEP_1)
	v_add_co_ci_u32_e64 v77, s0, 0, v79, s0
	v_lshl_add_u32 v80, v94, 4, 0
	v_lshl_add_u32 v81, v95, 4, 0
	;; [unrolled: 1-line block ×4, first 2 shown]
	ds_store_b128 v120, v[0:3]
	ds_store_b128 v120, v[24:27] offset:1584
	ds_store_b128 v120, v[28:31] offset:3168
	;; [unrolled: 1-line block ×17, first 2 shown]
	v_add_co_u32 v0, s0, 0x11e0, v78
	s_waitcnt lgkmcnt(0)
	s_barrier
	buffer_gl0_inv
	s_clause 0x2
	global_load_b128 v[4:7], v[92:93], off offset:480
	global_load_b128 v[8:11], v[106:107], off offset:16
	;; [unrolled: 1-line block ×3, first 2 shown]
	v_add_co_ci_u32_e64 v1, s0, 0, v79, s0
	s_clause 0x2
	global_load_b128 v[16:19], v[72:73], off offset:16
	global_load_b128 v[20:23], v[76:77], off offset:480
	;; [unrolled: 1-line block ×3, first 2 shown]
	ds_load_b128 v[28:31], v121 offset:9504
	ds_load_b128 v[32:35], v120 offset:19008
	;; [unrolled: 1-line block ×8, first 2 shown]
	ds_load_b128 v[0:3], v122
	ds_load_b128 v[60:63], v120 offset:15840
	ds_load_b128 v[64:67], v120 offset:17424
	;; [unrolled: 1-line block ×4, first 2 shown]
	ds_load_b128 v[76:79], v120
	v_mov_b32_e32 v115, v101
	s_waitcnt vmcnt(5) lgkmcnt(13)
	v_mul_f64 v[80:81], v[30:31], v[6:7]
	v_mul_f64 v[82:83], v[28:29], v[6:7]
	s_waitcnt vmcnt(4) lgkmcnt(12)
	v_mul_f64 v[84:85], v[34:35], v[10:11]
	v_mul_f64 v[86:87], v[32:33], v[10:11]
	;; [unrolled: 3-line block ×6, first 2 shown]
	s_waitcnt lgkmcnt(7)
	v_mul_f64 v[106:107], v[54:55], v[6:7]
	v_mul_f64 v[6:7], v[52:53], v[6:7]
	s_waitcnt lgkmcnt(6)
	v_mul_f64 v[108:109], v[58:59], v[10:11]
	v_mul_f64 v[10:11], v[56:57], v[10:11]
	s_waitcnt lgkmcnt(4)
	v_mul_f64 v[110:111], v[62:63], v[14:15]
	s_waitcnt lgkmcnt(2)
	v_mul_f64 v[123:124], v[70:71], v[18:19]
	v_mul_f64 v[14:15], v[60:61], v[14:15]
	;; [unrolled: 1-line block ×4, first 2 shown]
	s_waitcnt lgkmcnt(1)
	v_mul_f64 v[127:128], v[74:75], v[26:27]
	v_mul_f64 v[22:23], v[64:65], v[22:23]
	;; [unrolled: 1-line block ×3, first 2 shown]
	v_fma_f64 v[28:29], v[28:29], v[4:5], -v[80:81]
	v_fma_f64 v[30:31], v[30:31], v[4:5], v[82:83]
	v_fma_f64 v[32:33], v[32:33], v[8:9], -v[84:85]
	v_fma_f64 v[34:35], v[34:35], v[8:9], v[86:87]
	;; [unrolled: 2-line block ×8, first 2 shown]
	v_fma_f64 v[60:61], v[60:61], v[12:13], -v[110:111]
	v_fma_f64 v[68:69], v[68:69], v[16:17], -v[123:124]
	v_fma_f64 v[62:63], v[62:63], v[12:13], v[14:15]
	v_fma_f64 v[70:71], v[70:71], v[16:17], v[18:19]
	v_fma_f64 v[64:65], v[64:65], v[20:21], -v[125:126]
	v_fma_f64 v[72:73], v[72:73], v[24:25], -v[127:128]
	v_fma_f64 v[20:21], v[66:67], v[20:21], v[22:23]
	v_fma_f64 v[26:27], v[74:75], v[24:25], v[26:27]
	ds_load_b128 v[4:7], v121 offset:3168
	ds_load_b128 v[8:11], v121 offset:4752
	;; [unrolled: 1-line block ×4, first 2 shown]
	s_waitcnt lgkmcnt(0)
	s_barrier
	buffer_gl0_inv
	v_add_f64 v[96:97], v[76:77], v[28:29]
	v_add_f64 v[22:23], v[28:29], v[32:33]
	;; [unrolled: 1-line block ×3, first 2 shown]
	v_add_f64 v[98:99], v[30:31], -v[34:35]
	v_add_f64 v[30:31], v[78:79], v[30:31]
	v_add_f64 v[66:67], v[36:37], v[40:41]
	;; [unrolled: 1-line block ×3, first 2 shown]
	v_add_f64 v[131:132], v[28:29], -v[32:33]
	v_add_f64 v[100:101], v[0:1], v[36:37]
	v_add_f64 v[80:81], v[44:45], v[48:49]
	;; [unrolled: 1-line block ×4, first 2 shown]
	v_add_f64 v[38:39], v[38:39], -v[42:43]
	v_add_f64 v[84:85], v[52:53], v[56:57]
	v_add_f64 v[86:87], v[54:55], v[58:59]
	v_add_f64 v[133:134], v[36:37], -v[40:41]
	v_add_f64 v[88:89], v[60:61], v[68:69]
	v_add_f64 v[104:105], v[4:5], v[44:45]
	;; [unrolled: 1-line block ×5, first 2 shown]
	v_add_f64 v[46:47], v[46:47], -v[50:51]
	v_add_f64 v[94:95], v[20:21], v[26:27]
	v_add_f64 v[135:136], v[44:45], -v[48:49]
	v_add_f64 v[108:109], v[8:9], v[52:53]
	v_add_f64 v[110:111], v[10:11], v[54:55]
	v_add_f64 v[54:55], v[54:55], -v[58:59]
	v_add_f64 v[137:138], v[52:53], -v[56:57]
	v_add_f64 v[123:124], v[12:13], v[60:61]
	v_add_f64 v[125:126], v[14:15], v[62:63]
	v_add_f64 v[62:63], v[62:63], -v[70:71]
	;; [unrolled: 4-line block ×3, first 2 shown]
	v_add_f64 v[143:144], v[64:65], -v[72:73]
	v_fma_f64 v[76:77], v[22:23], -0.5, v[76:77]
	v_fma_f64 v[78:79], v[24:25], -0.5, v[78:79]
	v_fma_f64 v[66:67], v[66:67], -0.5, v[0:1]
	v_fma_f64 v[74:75], v[74:75], -0.5, v[2:3]
	v_add_f64 v[0:1], v[96:97], v[32:33]
	v_add_f64 v[2:3], v[30:31], v[34:35]
	v_fma_f64 v[80:81], v[80:81], -0.5, v[4:5]
	v_fma_f64 v[82:83], v[82:83], -0.5, v[6:7]
	v_add_f64 v[4:5], v[100:101], v[40:41]
	v_add_f64 v[6:7], v[102:103], v[42:43]
	v_fma_f64 v[84:85], v[84:85], -0.5, v[8:9]
	v_fma_f64 v[86:87], v[86:87], -0.5, v[10:11]
	v_lshlrev_b64 v[8:9], 4, v[114:115]
	v_fma_f64 v[88:89], v[88:89], -0.5, v[12:13]
	v_add_f64 v[12:13], v[104:105], v[48:49]
	v_fma_f64 v[90:91], v[90:91], -0.5, v[14:15]
	v_add_f64 v[14:15], v[106:107], v[50:51]
	v_fma_f64 v[92:93], v[92:93], -0.5, v[16:17]
	v_lshlrev_b64 v[10:11], 4, v[118:119]
	v_fma_f64 v[94:95], v[94:95], -0.5, v[18:19]
	v_add_f64 v[16:17], v[108:109], v[56:57]
	v_add_f64 v[18:19], v[110:111], v[58:59]
	v_add_f64 v[20:21], v[123:124], v[68:69]
	v_add_f64 v[22:23], v[125:126], v[70:71]
	v_add_f64 v[24:25], v[127:128], v[72:73]
	v_add_f64 v[26:27], v[129:130], v[26:27]
	v_fma_f64 v[28:29], v[98:99], s[4:5], v[76:77]
	v_fma_f64 v[30:31], v[131:132], s[10:11], v[78:79]
	;; [unrolled: 1-line block ×24, first 2 shown]
	v_add_co_u32 v82, s0, s8, v8
	s_delay_alu instid0(VALU_DEP_1) | instskip(SKIP_1) | instid1(VALU_DEP_1)
	v_add_co_ci_u32_e64 v83, s0, s9, v9, s0
	v_add_co_u32 v78, s0, s8, v10
	v_add_co_ci_u32_e64 v79, s0, s9, v11, s0
	s_delay_alu instid0(VALU_DEP_4) | instskip(NEXT) | instid1(VALU_DEP_1)
	v_add_co_u32 v76, s0, 0x3000, v82
	v_add_co_ci_u32_e64 v77, s0, 0, v83, s0
	s_delay_alu instid0(VALU_DEP_4) | instskip(NEXT) | instid1(VALU_DEP_1)
	v_add_co_u32 v78, s0, 0x3000, v78
	v_add_co_ci_u32_e64 v79, s0, 0, v79, s0
	v_add_co_u32 v80, s0, 0x4000, v82
	ds_store_b128 v120, v[0:3]
	ds_store_b128 v120, v[28:31] offset:4752
	ds_store_b128 v120, v[32:35] offset:9504
	ds_store_b128 v122, v[4:7]
	ds_store_b128 v122, v[36:39] offset:4752
	ds_store_b128 v122, v[40:43] offset:9504
	;; [unrolled: 1-line block ×14, first 2 shown]
	s_waitcnt lgkmcnt(0)
	s_barrier
	buffer_gl0_inv
	global_load_b128 v[0:3], v[76:77], off offset:1792
	v_add_co_ci_u32_e64 v81, s0, 0, v83, s0
	v_add_co_u32 v28, s0, 0x5000, v82
	s_clause 0x3
	global_load_b128 v[4:7], v[78:79], off offset:1792
	global_load_b128 v[12:15], v[80:81], off offset:864
	;; [unrolled: 1-line block ×4, first 2 shown]
	v_add_co_ci_u32_e64 v29, s0, 0, v83, s0
	v_add_co_u32 v36, s0, 0x6000, v82
	s_delay_alu instid0(VALU_DEP_1)
	v_add_co_ci_u32_e64 v37, s0, 0, v83, s0
	s_clause 0x3
	global_load_b128 v[24:27], v[28:29], off offset:1520
	global_load_b128 v[28:31], v[28:29], off offset:3104
	;; [unrolled: 1-line block ×4, first 2 shown]
	ds_load_b128 v[40:43], v120 offset:14256
	ds_load_b128 v[44:47], v120 offset:15840
	;; [unrolled: 1-line block ×10, first 2 shown]
	s_addc_u32 s4, s9, 0
	s_mov_b32 s5, exec_lo
	s_waitcnt vmcnt(8) lgkmcnt(9)
	v_mul_f64 v[80:81], v[42:43], v[2:3]
	v_mul_f64 v[2:3], v[40:41], v[2:3]
	s_waitcnt vmcnt(7) lgkmcnt(8)
	v_mul_f64 v[82:83], v[46:47], v[6:7]
	v_mul_f64 v[6:7], v[44:45], v[6:7]
	;; [unrolled: 3-line block ×9, first 2 shown]
	v_fma_f64 v[40:41], v[40:41], v[0:1], -v[80:81]
	v_fma_f64 v[42:43], v[42:43], v[0:1], v[2:3]
	v_fma_f64 v[44:45], v[44:45], v[4:5], -v[82:83]
	v_fma_f64 v[46:47], v[46:47], v[4:5], v[6:7]
	;; [unrolled: 2-line block ×9, first 2 shown]
	ds_load_b128 v[0:3], v120
	ds_load_b128 v[4:7], v122
	ds_load_b128 v[12:15], v121 offset:3168
	ds_load_b128 v[16:19], v121 offset:4752
	;; [unrolled: 1-line block ×6, first 2 shown]
	s_waitcnt lgkmcnt(0)
	s_barrier
	buffer_gl0_inv
	v_add_f64 v[36:37], v[0:1], -v[40:41]
	v_add_f64 v[38:39], v[2:3], -v[42:43]
	;; [unrolled: 1-line block ×18, first 2 shown]
	v_fma_f64 v[0:1], v[0:1], 2.0, -v[36:37]
	v_fma_f64 v[2:3], v[2:3], 2.0, -v[38:39]
	;; [unrolled: 1-line block ×18, first 2 shown]
	ds_store_b128 v120, v[0:3]
	ds_store_b128 v120, v[36:39] offset:14256
	ds_store_b128 v122, v[4:7]
	ds_store_b128 v122, v[40:43] offset:14256
	ds_store_b128 v121, v[12:15] offset:3168
	;; [unrolled: 1-line block ×15, first 2 shown]
	s_waitcnt lgkmcnt(0)
	s_barrier
	buffer_gl0_inv
	ds_load_b128 v[4:7], v120
	v_lshlrev_b32_e32 v0, 4, v114
                                        ; implicit-def: $vgpr12_vgpr13
                                        ; implicit-def: $vgpr14_vgpr15
	s_delay_alu instid0(VALU_DEP_1)
	v_sub_nc_u32_e32 v16, 0, v0
                                        ; implicit-def: $vgpr0_vgpr1
	v_cmpx_ne_u32_e32 0, v114
	s_xor_b32 s5, exec_lo, s5
	s_cbranch_execz .LBB0_17
; %bb.16:
	v_add_co_u32 v0, s0, s1, v8
	s_delay_alu instid0(VALU_DEP_1)
	v_add_co_ci_u32_e64 v1, s0, s4, v9, s0
	global_load_b128 v[17:20], v[0:1], off
	ds_load_b128 v[0:3], v16 offset:28512
	s_waitcnt lgkmcnt(0)
	v_add_f64 v[12:13], v[4:5], -v[0:1]
	v_add_f64 v[14:15], v[6:7], v[2:3]
	v_add_f64 v[2:3], v[6:7], -v[2:3]
	v_add_f64 v[0:1], v[4:5], v[0:1]
	s_delay_alu instid0(VALU_DEP_4) | instskip(NEXT) | instid1(VALU_DEP_4)
	v_mul_f64 v[6:7], v[12:13], 0.5
	v_mul_f64 v[4:5], v[14:15], 0.5
	s_delay_alu instid0(VALU_DEP_4) | instskip(SKIP_1) | instid1(VALU_DEP_3)
	v_mul_f64 v[2:3], v[2:3], 0.5
	s_waitcnt vmcnt(0)
	v_mul_f64 v[12:13], v[6:7], v[19:20]
	s_delay_alu instid0(VALU_DEP_2) | instskip(SKIP_1) | instid1(VALU_DEP_3)
	v_fma_f64 v[14:15], v[4:5], v[19:20], v[2:3]
	v_fma_f64 v[2:3], v[4:5], v[19:20], -v[2:3]
	v_fma_f64 v[21:22], v[0:1], 0.5, v[12:13]
	v_fma_f64 v[0:1], v[0:1], 0.5, -v[12:13]
	s_delay_alu instid0(VALU_DEP_4) | instskip(NEXT) | instid1(VALU_DEP_4)
	v_fma_f64 v[14:15], -v[17:18], v[6:7], v[14:15]
	v_fma_f64 v[2:3], -v[17:18], v[6:7], v[2:3]
	s_delay_alu instid0(VALU_DEP_4) | instskip(NEXT) | instid1(VALU_DEP_4)
	v_fma_f64 v[12:13], v[4:5], v[17:18], v[21:22]
	v_fma_f64 v[0:1], -v[4:5], v[17:18], v[0:1]
                                        ; implicit-def: $vgpr4_vgpr5
.LBB0_17:
	s_and_not1_saveexec_b32 s0, s5
	s_cbranch_execz .LBB0_19
; %bb.18:
	s_waitcnt lgkmcnt(0)
	v_add_f64 v[12:13], v[4:5], v[6:7]
	v_add_f64 v[0:1], v[4:5], -v[6:7]
	v_mov_b32_e32 v6, 0
	v_mov_b32_e32 v14, 0
	;; [unrolled: 1-line block ×3, first 2 shown]
	s_delay_alu instid0(VALU_DEP_2)
	v_mov_b32_e32 v2, v14
	ds_load_b64 v[4:5], v6 offset:14264
	v_mov_b32_e32 v3, v15
	s_waitcnt lgkmcnt(0)
	v_xor_b32_e32 v5, 0x80000000, v5
	ds_store_b64 v6, v[4:5] offset:14264
.LBB0_19:
	s_or_b32 exec_lo, exec_lo, s0
	s_waitcnt lgkmcnt(0)
	v_add_co_u32 v4, s0, s1, v10
	s_delay_alu instid0(VALU_DEP_1) | instskip(SKIP_1) | instid1(VALU_DEP_1)
	v_add_co_ci_u32_e64 v5, s0, s4, v11, s0
	v_add_co_u32 v17, s0, s1, v8
	v_add_co_ci_u32_e64 v18, s0, s4, v9, s0
	s_clause 0x1
	global_load_b128 v[4:7], v[4:5], off
	global_load_b128 v[8:11], v[17:18], off offset:3168
	ds_store_2addr_b64 v120, v[12:13], v[14:15] offset1:1
	ds_store_b128 v16, v[0:3] offset:28512
	ds_load_b128 v[0:3], v122
	ds_load_b128 v[12:15], v16 offset:26928
	s_waitcnt lgkmcnt(0)
	v_add_f64 v[19:20], v[0:1], -v[12:13]
	v_add_f64 v[21:22], v[2:3], v[14:15]
	v_add_f64 v[2:3], v[2:3], -v[14:15]
	v_add_f64 v[0:1], v[0:1], v[12:13]
	s_delay_alu instid0(VALU_DEP_4) | instskip(NEXT) | instid1(VALU_DEP_4)
	v_mul_f64 v[14:15], v[19:20], 0.5
	v_mul_f64 v[19:20], v[21:22], 0.5
	s_delay_alu instid0(VALU_DEP_4) | instskip(SKIP_1) | instid1(VALU_DEP_3)
	v_mul_f64 v[2:3], v[2:3], 0.5
	s_waitcnt vmcnt(1)
	v_mul_f64 v[12:13], v[14:15], v[6:7]
	s_delay_alu instid0(VALU_DEP_2) | instskip(SKIP_1) | instid1(VALU_DEP_3)
	v_fma_f64 v[21:22], v[19:20], v[6:7], v[2:3]
	v_fma_f64 v[2:3], v[19:20], v[6:7], -v[2:3]
	v_fma_f64 v[6:7], v[0:1], 0.5, v[12:13]
	v_fma_f64 v[0:1], v[0:1], 0.5, -v[12:13]
	s_delay_alu instid0(VALU_DEP_4) | instskip(NEXT) | instid1(VALU_DEP_4)
	v_fma_f64 v[12:13], -v[4:5], v[14:15], v[21:22]
	v_fma_f64 v[2:3], -v[4:5], v[14:15], v[2:3]
	s_delay_alu instid0(VALU_DEP_4) | instskip(NEXT) | instid1(VALU_DEP_4)
	v_fma_f64 v[14:15], v[19:20], v[4:5], v[6:7]
	v_fma_f64 v[0:1], -v[19:20], v[4:5], v[0:1]
	v_add_co_u32 v19, s0, 0x1000, v17
	s_delay_alu instid0(VALU_DEP_1)
	v_add_co_ci_u32_e64 v20, s0, 0, v18, s0
	global_load_b128 v[4:7], v[19:20], off offset:656
	ds_store_2addr_b64 v122, v[14:15], v[12:13] offset1:1
	ds_store_b128 v16, v[0:3] offset:26928
	ds_load_b128 v[0:3], v121 offset:3168
	ds_load_b128 v[12:15], v16 offset:25344
	s_waitcnt lgkmcnt(0)
	v_add_f64 v[21:22], v[0:1], -v[12:13]
	v_add_f64 v[23:24], v[2:3], v[14:15]
	v_add_f64 v[2:3], v[2:3], -v[14:15]
	v_add_f64 v[0:1], v[0:1], v[12:13]
	s_delay_alu instid0(VALU_DEP_4) | instskip(NEXT) | instid1(VALU_DEP_4)
	v_mul_f64 v[14:15], v[21:22], 0.5
	v_mul_f64 v[21:22], v[23:24], 0.5
	s_delay_alu instid0(VALU_DEP_4) | instskip(SKIP_1) | instid1(VALU_DEP_3)
	v_mul_f64 v[2:3], v[2:3], 0.5
	s_waitcnt vmcnt(1)
	v_mul_f64 v[12:13], v[14:15], v[10:11]
	s_delay_alu instid0(VALU_DEP_2) | instskip(SKIP_1) | instid1(VALU_DEP_3)
	v_fma_f64 v[23:24], v[21:22], v[10:11], v[2:3]
	v_fma_f64 v[2:3], v[21:22], v[10:11], -v[2:3]
	v_fma_f64 v[10:11], v[0:1], 0.5, v[12:13]
	v_fma_f64 v[0:1], v[0:1], 0.5, -v[12:13]
	s_delay_alu instid0(VALU_DEP_4) | instskip(NEXT) | instid1(VALU_DEP_4)
	v_fma_f64 v[12:13], -v[8:9], v[14:15], v[23:24]
	v_fma_f64 v[14:15], -v[8:9], v[14:15], v[2:3]
	s_delay_alu instid0(VALU_DEP_4) | instskip(NEXT) | instid1(VALU_DEP_4)
	v_fma_f64 v[10:11], v[21:22], v[8:9], v[10:11]
	v_fma_f64 v[8:9], -v[21:22], v[8:9], v[0:1]
	global_load_b128 v[0:3], v[19:20], off offset:2240
	ds_store_b64 v121, v[12:13] offset:3176
	ds_store_b64 v16, v[14:15] offset:25352
	;; [unrolled: 1-line block ×4, first 2 shown]
	ds_load_b128 v[8:11], v121 offset:4752
	ds_load_b128 v[12:15], v16 offset:23760
	s_waitcnt lgkmcnt(0)
	v_add_f64 v[21:22], v[8:9], -v[12:13]
	v_add_f64 v[23:24], v[10:11], v[14:15]
	v_add_f64 v[10:11], v[10:11], -v[14:15]
	v_add_f64 v[8:9], v[8:9], v[12:13]
	s_delay_alu instid0(VALU_DEP_4) | instskip(NEXT) | instid1(VALU_DEP_4)
	v_mul_f64 v[14:15], v[21:22], 0.5
	v_mul_f64 v[21:22], v[23:24], 0.5
	s_delay_alu instid0(VALU_DEP_4) | instskip(SKIP_1) | instid1(VALU_DEP_3)
	v_mul_f64 v[10:11], v[10:11], 0.5
	s_waitcnt vmcnt(1)
	v_mul_f64 v[12:13], v[14:15], v[6:7]
	s_delay_alu instid0(VALU_DEP_2) | instskip(SKIP_1) | instid1(VALU_DEP_3)
	v_fma_f64 v[23:24], v[21:22], v[6:7], v[10:11]
	v_fma_f64 v[6:7], v[21:22], v[6:7], -v[10:11]
	v_fma_f64 v[10:11], v[8:9], 0.5, v[12:13]
	v_fma_f64 v[8:9], v[8:9], 0.5, -v[12:13]
	s_delay_alu instid0(VALU_DEP_4) | instskip(NEXT) | instid1(VALU_DEP_4)
	v_fma_f64 v[12:13], -v[4:5], v[14:15], v[23:24]
	v_fma_f64 v[14:15], -v[4:5], v[14:15], v[6:7]
	s_delay_alu instid0(VALU_DEP_4) | instskip(NEXT) | instid1(VALU_DEP_4)
	v_fma_f64 v[10:11], v[21:22], v[4:5], v[10:11]
	v_fma_f64 v[8:9], -v[21:22], v[4:5], v[8:9]
	global_load_b128 v[4:7], v[19:20], off offset:3824
	ds_store_b64 v121, v[12:13] offset:4760
	ds_store_b64 v16, v[14:15] offset:23768
	;; [unrolled: 1-line block ×4, first 2 shown]
	ds_load_b128 v[8:11], v121 offset:6336
	ds_load_b128 v[12:15], v16 offset:22176
	s_waitcnt lgkmcnt(0)
	v_add_f64 v[19:20], v[8:9], -v[12:13]
	v_add_f64 v[21:22], v[10:11], v[14:15]
	v_add_f64 v[10:11], v[10:11], -v[14:15]
	v_add_f64 v[8:9], v[8:9], v[12:13]
	s_delay_alu instid0(VALU_DEP_4) | instskip(NEXT) | instid1(VALU_DEP_4)
	v_mul_f64 v[14:15], v[19:20], 0.5
	v_mul_f64 v[19:20], v[21:22], 0.5
	s_delay_alu instid0(VALU_DEP_4) | instskip(SKIP_1) | instid1(VALU_DEP_3)
	v_mul_f64 v[10:11], v[10:11], 0.5
	s_waitcnt vmcnt(1)
	v_mul_f64 v[12:13], v[14:15], v[2:3]
	s_delay_alu instid0(VALU_DEP_2) | instskip(SKIP_1) | instid1(VALU_DEP_3)
	v_fma_f64 v[21:22], v[19:20], v[2:3], v[10:11]
	v_fma_f64 v[2:3], v[19:20], v[2:3], -v[10:11]
	v_fma_f64 v[10:11], v[8:9], 0.5, v[12:13]
	v_fma_f64 v[8:9], v[8:9], 0.5, -v[12:13]
	s_delay_alu instid0(VALU_DEP_4) | instskip(NEXT) | instid1(VALU_DEP_4)
	v_fma_f64 v[12:13], -v[0:1], v[14:15], v[21:22]
	v_fma_f64 v[14:15], -v[0:1], v[14:15], v[2:3]
	s_delay_alu instid0(VALU_DEP_4) | instskip(NEXT) | instid1(VALU_DEP_4)
	v_fma_f64 v[10:11], v[19:20], v[0:1], v[10:11]
	v_fma_f64 v[8:9], -v[19:20], v[0:1], v[8:9]
	v_add_co_u32 v19, s0, 0x2000, v17
	s_delay_alu instid0(VALU_DEP_1)
	v_add_co_ci_u32_e64 v20, s0, 0, v18, s0
	global_load_b128 v[0:3], v[19:20], off offset:1312
	ds_store_b64 v121, v[12:13] offset:6344
	ds_store_b64 v16, v[14:15] offset:22184
	;; [unrolled: 1-line block ×4, first 2 shown]
	ds_load_b128 v[8:11], v121 offset:7920
	ds_load_b128 v[12:15], v16 offset:20592
	s_waitcnt lgkmcnt(0)
	v_add_f64 v[21:22], v[8:9], -v[12:13]
	v_add_f64 v[23:24], v[10:11], v[14:15]
	v_add_f64 v[10:11], v[10:11], -v[14:15]
	v_add_f64 v[8:9], v[8:9], v[12:13]
	s_delay_alu instid0(VALU_DEP_4) | instskip(NEXT) | instid1(VALU_DEP_4)
	v_mul_f64 v[14:15], v[21:22], 0.5
	v_mul_f64 v[21:22], v[23:24], 0.5
	s_delay_alu instid0(VALU_DEP_4) | instskip(SKIP_1) | instid1(VALU_DEP_3)
	v_mul_f64 v[10:11], v[10:11], 0.5
	s_waitcnt vmcnt(1)
	v_mul_f64 v[12:13], v[14:15], v[6:7]
	s_delay_alu instid0(VALU_DEP_2) | instskip(SKIP_1) | instid1(VALU_DEP_3)
	v_fma_f64 v[23:24], v[21:22], v[6:7], v[10:11]
	v_fma_f64 v[6:7], v[21:22], v[6:7], -v[10:11]
	v_fma_f64 v[10:11], v[8:9], 0.5, v[12:13]
	v_fma_f64 v[8:9], v[8:9], 0.5, -v[12:13]
	s_delay_alu instid0(VALU_DEP_4) | instskip(NEXT) | instid1(VALU_DEP_4)
	v_fma_f64 v[12:13], -v[4:5], v[14:15], v[23:24]
	v_fma_f64 v[14:15], -v[4:5], v[14:15], v[6:7]
	s_delay_alu instid0(VALU_DEP_4) | instskip(NEXT) | instid1(VALU_DEP_4)
	v_fma_f64 v[10:11], v[21:22], v[4:5], v[10:11]
	v_fma_f64 v[8:9], -v[21:22], v[4:5], v[8:9]
	global_load_b128 v[4:7], v[19:20], off offset:2896
	ds_store_b64 v121, v[12:13] offset:7928
	ds_store_b64 v16, v[14:15] offset:20600
	ds_store_b64 v121, v[10:11] offset:7920
	ds_store_b64 v16, v[8:9] offset:20592
	ds_load_b128 v[8:11], v121 offset:9504
	ds_load_b128 v[12:15], v16 offset:19008
	s_waitcnt lgkmcnt(0)
	v_add_f64 v[19:20], v[8:9], -v[12:13]
	v_add_f64 v[21:22], v[10:11], v[14:15]
	v_add_f64 v[10:11], v[10:11], -v[14:15]
	v_add_f64 v[8:9], v[8:9], v[12:13]
	s_delay_alu instid0(VALU_DEP_4) | instskip(NEXT) | instid1(VALU_DEP_4)
	v_mul_f64 v[14:15], v[19:20], 0.5
	v_mul_f64 v[19:20], v[21:22], 0.5
	s_delay_alu instid0(VALU_DEP_4) | instskip(SKIP_1) | instid1(VALU_DEP_3)
	v_mul_f64 v[10:11], v[10:11], 0.5
	s_waitcnt vmcnt(1)
	v_mul_f64 v[12:13], v[14:15], v[2:3]
	s_delay_alu instid0(VALU_DEP_2) | instskip(SKIP_1) | instid1(VALU_DEP_3)
	v_fma_f64 v[21:22], v[19:20], v[2:3], v[10:11]
	v_fma_f64 v[2:3], v[19:20], v[2:3], -v[10:11]
	v_fma_f64 v[10:11], v[8:9], 0.5, v[12:13]
	v_fma_f64 v[8:9], v[8:9], 0.5, -v[12:13]
	s_delay_alu instid0(VALU_DEP_4) | instskip(NEXT) | instid1(VALU_DEP_4)
	v_fma_f64 v[12:13], -v[0:1], v[14:15], v[21:22]
	v_fma_f64 v[14:15], -v[0:1], v[14:15], v[2:3]
	s_delay_alu instid0(VALU_DEP_4) | instskip(NEXT) | instid1(VALU_DEP_4)
	v_fma_f64 v[10:11], v[19:20], v[0:1], v[10:11]
	v_fma_f64 v[8:9], -v[19:20], v[0:1], v[8:9]
	v_add_co_u32 v0, s0, 0x3000, v17
	s_delay_alu instid0(VALU_DEP_1)
	v_add_co_ci_u32_e64 v1, s0, 0, v18, s0
	global_load_b128 v[0:3], v[0:1], off offset:384
	ds_store_b64 v121, v[12:13] offset:9512
	ds_store_b64 v16, v[14:15] offset:19016
	;; [unrolled: 1-line block ×4, first 2 shown]
	ds_load_b128 v[8:11], v120 offset:11088
	ds_load_b128 v[12:15], v16 offset:17424
	s_waitcnt lgkmcnt(0)
	v_add_f64 v[17:18], v[8:9], -v[12:13]
	v_add_f64 v[19:20], v[10:11], v[14:15]
	v_add_f64 v[10:11], v[10:11], -v[14:15]
	v_add_f64 v[8:9], v[8:9], v[12:13]
	s_delay_alu instid0(VALU_DEP_4) | instskip(NEXT) | instid1(VALU_DEP_4)
	v_mul_f64 v[14:15], v[17:18], 0.5
	v_mul_f64 v[17:18], v[19:20], 0.5
	s_delay_alu instid0(VALU_DEP_4) | instskip(SKIP_1) | instid1(VALU_DEP_3)
	v_mul_f64 v[10:11], v[10:11], 0.5
	s_waitcnt vmcnt(1)
	v_mul_f64 v[12:13], v[14:15], v[6:7]
	s_delay_alu instid0(VALU_DEP_2) | instskip(SKIP_1) | instid1(VALU_DEP_3)
	v_fma_f64 v[19:20], v[17:18], v[6:7], v[10:11]
	v_fma_f64 v[6:7], v[17:18], v[6:7], -v[10:11]
	v_fma_f64 v[10:11], v[8:9], 0.5, v[12:13]
	v_fma_f64 v[8:9], v[8:9], 0.5, -v[12:13]
	s_delay_alu instid0(VALU_DEP_4) | instskip(NEXT) | instid1(VALU_DEP_4)
	v_fma_f64 v[12:13], -v[4:5], v[14:15], v[19:20]
	v_fma_f64 v[6:7], -v[4:5], v[14:15], v[6:7]
	s_delay_alu instid0(VALU_DEP_4) | instskip(NEXT) | instid1(VALU_DEP_4)
	v_fma_f64 v[10:11], v[17:18], v[4:5], v[10:11]
	v_fma_f64 v[4:5], -v[17:18], v[4:5], v[8:9]
	v_add_nc_u32_e32 v8, 0x2800, v120
	ds_store_2addr_b64 v8, v[10:11], v[12:13] offset0:106 offset1:107
	ds_store_b128 v16, v[4:7] offset:17424
	ds_load_b128 v[4:7], v120 offset:12672
	ds_load_b128 v[8:11], v16 offset:15840
	s_waitcnt lgkmcnt(0)
	v_add_f64 v[12:13], v[4:5], -v[8:9]
	v_add_f64 v[14:15], v[6:7], v[10:11]
	v_add_f64 v[6:7], v[6:7], -v[10:11]
	v_add_f64 v[4:5], v[4:5], v[8:9]
	s_delay_alu instid0(VALU_DEP_4) | instskip(NEXT) | instid1(VALU_DEP_4)
	v_mul_f64 v[10:11], v[12:13], 0.5
	v_mul_f64 v[12:13], v[14:15], 0.5
	s_delay_alu instid0(VALU_DEP_4) | instskip(SKIP_1) | instid1(VALU_DEP_3)
	v_mul_f64 v[6:7], v[6:7], 0.5
	s_waitcnt vmcnt(0)
	v_mul_f64 v[8:9], v[10:11], v[2:3]
	s_delay_alu instid0(VALU_DEP_2) | instskip(SKIP_1) | instid1(VALU_DEP_3)
	v_fma_f64 v[14:15], v[12:13], v[2:3], v[6:7]
	v_fma_f64 v[2:3], v[12:13], v[2:3], -v[6:7]
	v_fma_f64 v[6:7], v[4:5], 0.5, v[8:9]
	v_fma_f64 v[4:5], v[4:5], 0.5, -v[8:9]
	s_delay_alu instid0(VALU_DEP_4) | instskip(NEXT) | instid1(VALU_DEP_4)
	v_fma_f64 v[8:9], -v[0:1], v[10:11], v[14:15]
	v_fma_f64 v[2:3], -v[0:1], v[10:11], v[2:3]
	s_delay_alu instid0(VALU_DEP_4) | instskip(NEXT) | instid1(VALU_DEP_4)
	v_fma_f64 v[6:7], v[12:13], v[0:1], v[6:7]
	v_fma_f64 v[0:1], -v[12:13], v[0:1], v[4:5]
	v_add_nc_u32_e32 v4, 0x3000, v120
	ds_store_2addr_b64 v4, v[6:7], v[8:9] offset0:48 offset1:49
	ds_store_b128 v16, v[0:3] offset:15840
	s_waitcnt lgkmcnt(0)
	s_barrier
	buffer_gl0_inv
	s_and_saveexec_b32 s0, vcc_lo
	s_cbranch_execz .LBB0_22
; %bb.20:
	v_mul_lo_u32 v2, s3, v116
	v_mul_lo_u32 v3, s2, v117
	v_mad_u64_u32 v[0:1], null, s2, v116, 0
	v_lshl_add_u32 v28, v114, 4, 0
	v_dual_mov_b32 v115, 0 :: v_dual_add_nc_u32 v12, 0x63, v114
	v_lshlrev_b64 v[10:11], 4, v[112:113]
	v_add_nc_u32_e32 v26, 0x252, v114
	v_add_nc_u32_e32 v24, 0x1ef, v114
	v_add3_u32 v1, v1, v3, v2
	ds_load_b128 v[2:5], v28
	ds_load_b128 v[6:9], v28 offset:1584
	v_mov_b32_e32 v13, v115
	v_lshlrev_b64 v[14:15], 4, v[114:115]
	v_mov_b32_e32 v25, v115
	v_lshlrev_b64 v[0:1], 4, v[0:1]
	v_mov_b32_e32 v27, v115
	s_delay_alu instid0(VALU_DEP_3) | instskip(NEXT) | instid1(VALU_DEP_3)
	v_lshlrev_b64 v[24:25], 4, v[24:25]
	v_add_co_u32 v0, vcc_lo, s6, v0
	s_delay_alu instid0(VALU_DEP_4) | instskip(NEXT) | instid1(VALU_DEP_2)
	v_add_co_ci_u32_e32 v1, vcc_lo, s7, v1, vcc_lo
	v_add_co_u32 v0, vcc_lo, v0, v10
	s_delay_alu instid0(VALU_DEP_2) | instskip(SKIP_1) | instid1(VALU_DEP_3)
	v_add_co_ci_u32_e32 v1, vcc_lo, v1, v11, vcc_lo
	v_lshlrev_b64 v[10:11], 4, v[12:13]
	v_add_co_u32 v12, vcc_lo, v0, v14
	s_delay_alu instid0(VALU_DEP_3) | instskip(SKIP_1) | instid1(VALU_DEP_4)
	v_add_co_ci_u32_e32 v13, vcc_lo, v1, v15, vcc_lo
	v_add_nc_u32_e32 v14, 0xc6, v114
	v_add_co_u32 v10, vcc_lo, v0, v10
	v_mov_b32_e32 v15, v115
	v_add_co_ci_u32_e32 v11, vcc_lo, v1, v11, vcc_lo
	s_waitcnt lgkmcnt(1)
	global_store_b128 v[12:13], v[2:5], off
	s_waitcnt lgkmcnt(0)
	global_store_b128 v[10:11], v[6:9], off
	v_add_nc_u32_e32 v10, 0x129, v114
	v_lshlrev_b64 v[2:3], 4, v[14:15]
	v_dual_mov_b32 v11, v115 :: v_dual_add_nc_u32 v12, 0x18c, v114
	v_mov_b32_e32 v13, v115
	s_delay_alu instid0(VALU_DEP_3) | instskip(NEXT) | instid1(VALU_DEP_4)
	v_add_co_u32 v18, vcc_lo, v0, v2
	v_add_co_ci_u32_e32 v19, vcc_lo, v1, v3, vcc_lo
	ds_load_b128 v[2:5], v28 offset:3168
	ds_load_b128 v[6:9], v28 offset:4752
	v_lshlrev_b64 v[20:21], 4, v[10:11]
	v_lshlrev_b64 v[22:23], 4, v[12:13]
	ds_load_b128 v[10:13], v28 offset:6336
	ds_load_b128 v[14:17], v28 offset:7920
	v_add_co_u32 v20, vcc_lo, v0, v20
	v_add_co_ci_u32_e32 v21, vcc_lo, v1, v21, vcc_lo
	v_add_co_u32 v22, vcc_lo, v0, v22
	v_add_co_ci_u32_e32 v23, vcc_lo, v1, v23, vcc_lo
	;; [unrolled: 2-line block ×3, first 2 shown]
	s_waitcnt lgkmcnt(3)
	global_store_b128 v[18:19], v[2:5], off
	s_waitcnt lgkmcnt(2)
	global_store_b128 v[20:21], v[6:9], off
	;; [unrolled: 2-line block ×4, first 2 shown]
	v_add_nc_u32_e32 v10, 0x2b5, v114
	v_lshlrev_b64 v[2:3], 4, v[26:27]
	v_dual_mov_b32 v11, v115 :: v_dual_add_nc_u32 v12, 0x318, v114
	v_dual_mov_b32 v13, v115 :: v_dual_add_nc_u32 v24, 0x37b, v114
	;; [unrolled: 1-line block ×3, first 2 shown]
	s_delay_alu instid0(VALU_DEP_4)
	v_add_co_u32 v18, vcc_lo, v0, v2
	v_add_co_ci_u32_e32 v19, vcc_lo, v1, v3, vcc_lo
	ds_load_b128 v[2:5], v28 offset:9504
	ds_load_b128 v[6:9], v28 offset:11088
	v_lshlrev_b64 v[20:21], 4, v[10:11]
	v_lshlrev_b64 v[22:23], 4, v[12:13]
	ds_load_b128 v[10:13], v28 offset:12672
	ds_load_b128 v[14:17], v28 offset:14256
	v_lshlrev_b64 v[24:25], 4, v[24:25]
	v_add_co_u32 v20, vcc_lo, v0, v20
	v_add_co_ci_u32_e32 v21, vcc_lo, v1, v21, vcc_lo
	v_add_co_u32 v22, vcc_lo, v0, v22
	v_add_co_ci_u32_e32 v23, vcc_lo, v1, v23, vcc_lo
	;; [unrolled: 2-line block ×3, first 2 shown]
	s_waitcnt lgkmcnt(3)
	global_store_b128 v[18:19], v[2:5], off
	s_waitcnt lgkmcnt(2)
	global_store_b128 v[20:21], v[6:9], off
	;; [unrolled: 2-line block ×4, first 2 shown]
	v_lshlrev_b64 v[2:3], 4, v[26:27]
	v_dual_mov_b32 v11, v115 :: v_dual_add_nc_u32 v10, 0x441, v114
	v_dual_mov_b32 v13, v115 :: v_dual_add_nc_u32 v12, 0x4a4, v114
	;; [unrolled: 1-line block ×3, first 2 shown]
	s_delay_alu instid0(VALU_DEP_4)
	v_add_co_u32 v18, vcc_lo, v0, v2
	v_add_co_ci_u32_e32 v19, vcc_lo, v1, v3, vcc_lo
	ds_load_b128 v[2:5], v28 offset:15840
	ds_load_b128 v[6:9], v28 offset:17424
	v_lshlrev_b64 v[20:21], 4, v[10:11]
	v_lshlrev_b64 v[22:23], 4, v[12:13]
	ds_load_b128 v[10:13], v28 offset:19008
	ds_load_b128 v[14:17], v28 offset:20592
	v_lshlrev_b64 v[24:25], 4, v[24:25]
	v_add_nc_u32_e32 v26, 0x56a, v114
	v_add_co_u32 v20, vcc_lo, v0, v20
	v_add_co_ci_u32_e32 v21, vcc_lo, v1, v21, vcc_lo
	v_add_co_u32 v22, vcc_lo, v0, v22
	v_add_co_ci_u32_e32 v23, vcc_lo, v1, v23, vcc_lo
	;; [unrolled: 2-line block ×3, first 2 shown]
	s_waitcnt lgkmcnt(3)
	global_store_b128 v[18:19], v[2:5], off
	s_waitcnt lgkmcnt(2)
	global_store_b128 v[20:21], v[6:9], off
	;; [unrolled: 2-line block ×4, first 2 shown]
	v_mov_b32_e32 v11, v115
	v_lshlrev_b64 v[2:3], 4, v[26:27]
	v_dual_mov_b32 v13, v115 :: v_dual_add_nc_u32 v10, 0x5cd, v114
	v_dual_mov_b32 v25, v115 :: v_dual_add_nc_u32 v12, 0x630, v114
	v_add_nc_u32_e32 v24, 0x693, v114
	s_delay_alu instid0(VALU_DEP_4)
	v_add_co_u32 v18, vcc_lo, v0, v2
	v_add_co_ci_u32_e32 v19, vcc_lo, v1, v3, vcc_lo
	ds_load_b128 v[2:5], v28 offset:22176
	ds_load_b128 v[6:9], v28 offset:23760
	v_lshlrev_b64 v[20:21], 4, v[10:11]
	v_lshlrev_b64 v[22:23], 4, v[12:13]
	ds_load_b128 v[10:13], v28 offset:25344
	ds_load_b128 v[14:17], v28 offset:26928
	v_lshlrev_b64 v[24:25], 4, v[24:25]
	v_add_co_u32 v20, vcc_lo, v0, v20
	v_add_co_ci_u32_e32 v21, vcc_lo, v1, v21, vcc_lo
	v_add_co_u32 v22, vcc_lo, v0, v22
	v_add_co_ci_u32_e32 v23, vcc_lo, v1, v23, vcc_lo
	;; [unrolled: 2-line block ×3, first 2 shown]
	v_cmp_eq_u32_e32 vcc_lo, 0x62, v114
	s_waitcnt lgkmcnt(3)
	global_store_b128 v[18:19], v[2:5], off
	s_waitcnt lgkmcnt(2)
	global_store_b128 v[20:21], v[6:9], off
	;; [unrolled: 2-line block ×4, first 2 shown]
	s_and_b32 exec_lo, exec_lo, vcc_lo
	s_cbranch_execz .LBB0_22
; %bb.21:
	ds_load_b128 v[2:5], v115 offset:28512
	v_add_co_u32 v0, vcc_lo, 0x6000, v0
	v_add_co_ci_u32_e32 v1, vcc_lo, 0, v1, vcc_lo
	s_waitcnt lgkmcnt(0)
	global_store_b128 v[0:1], v[2:5], off offset:3936
.LBB0_22:
	s_nop 0
	s_sendmsg sendmsg(MSG_DEALLOC_VGPRS)
	s_endpgm
	.section	.rodata,"a",@progbits
	.p2align	6, 0x0
	.amdhsa_kernel fft_rtc_fwd_len1782_factors_11_3_3_3_3_2_wgs_99_tpt_99_halfLds_dp_op_CI_CI_unitstride_sbrr_R2C_dirReg
		.amdhsa_group_segment_fixed_size 0
		.amdhsa_private_segment_fixed_size 0
		.amdhsa_kernarg_size 104
		.amdhsa_user_sgpr_count 15
		.amdhsa_user_sgpr_dispatch_ptr 0
		.amdhsa_user_sgpr_queue_ptr 0
		.amdhsa_user_sgpr_kernarg_segment_ptr 1
		.amdhsa_user_sgpr_dispatch_id 0
		.amdhsa_user_sgpr_private_segment_size 0
		.amdhsa_wavefront_size32 1
		.amdhsa_uses_dynamic_stack 0
		.amdhsa_enable_private_segment 0
		.amdhsa_system_sgpr_workgroup_id_x 1
		.amdhsa_system_sgpr_workgroup_id_y 0
		.amdhsa_system_sgpr_workgroup_id_z 0
		.amdhsa_system_sgpr_workgroup_info 0
		.amdhsa_system_vgpr_workitem_id 0
		.amdhsa_next_free_vgpr 235
		.amdhsa_next_free_sgpr 38
		.amdhsa_reserve_vcc 1
		.amdhsa_float_round_mode_32 0
		.amdhsa_float_round_mode_16_64 0
		.amdhsa_float_denorm_mode_32 3
		.amdhsa_float_denorm_mode_16_64 3
		.amdhsa_dx10_clamp 1
		.amdhsa_ieee_mode 1
		.amdhsa_fp16_overflow 0
		.amdhsa_workgroup_processor_mode 1
		.amdhsa_memory_ordered 1
		.amdhsa_forward_progress 0
		.amdhsa_shared_vgpr_count 0
		.amdhsa_exception_fp_ieee_invalid_op 0
		.amdhsa_exception_fp_denorm_src 0
		.amdhsa_exception_fp_ieee_div_zero 0
		.amdhsa_exception_fp_ieee_overflow 0
		.amdhsa_exception_fp_ieee_underflow 0
		.amdhsa_exception_fp_ieee_inexact 0
		.amdhsa_exception_int_div_zero 0
	.end_amdhsa_kernel
	.text
.Lfunc_end0:
	.size	fft_rtc_fwd_len1782_factors_11_3_3_3_3_2_wgs_99_tpt_99_halfLds_dp_op_CI_CI_unitstride_sbrr_R2C_dirReg, .Lfunc_end0-fft_rtc_fwd_len1782_factors_11_3_3_3_3_2_wgs_99_tpt_99_halfLds_dp_op_CI_CI_unitstride_sbrr_R2C_dirReg
                                        ; -- End function
	.section	.AMDGPU.csdata,"",@progbits
; Kernel info:
; codeLenInByte = 19360
; NumSgprs: 40
; NumVgprs: 235
; ScratchSize: 0
; MemoryBound: 0
; FloatMode: 240
; IeeeMode: 1
; LDSByteSize: 0 bytes/workgroup (compile time only)
; SGPRBlocks: 4
; VGPRBlocks: 29
; NumSGPRsForWavesPerEU: 40
; NumVGPRsForWavesPerEU: 235
; Occupancy: 6
; WaveLimiterHint : 1
; COMPUTE_PGM_RSRC2:SCRATCH_EN: 0
; COMPUTE_PGM_RSRC2:USER_SGPR: 15
; COMPUTE_PGM_RSRC2:TRAP_HANDLER: 0
; COMPUTE_PGM_RSRC2:TGID_X_EN: 1
; COMPUTE_PGM_RSRC2:TGID_Y_EN: 0
; COMPUTE_PGM_RSRC2:TGID_Z_EN: 0
; COMPUTE_PGM_RSRC2:TIDIG_COMP_CNT: 0
	.text
	.p2alignl 7, 3214868480
	.fill 96, 4, 3214868480
	.type	__hip_cuid_a7d63279d326838d,@object ; @__hip_cuid_a7d63279d326838d
	.section	.bss,"aw",@nobits
	.globl	__hip_cuid_a7d63279d326838d
__hip_cuid_a7d63279d326838d:
	.byte	0                               ; 0x0
	.size	__hip_cuid_a7d63279d326838d, 1

	.ident	"AMD clang version 19.0.0git (https://github.com/RadeonOpenCompute/llvm-project roc-6.4.0 25133 c7fe45cf4b819c5991fe208aaa96edf142730f1d)"
	.section	".note.GNU-stack","",@progbits
	.addrsig
	.addrsig_sym __hip_cuid_a7d63279d326838d
	.amdgpu_metadata
---
amdhsa.kernels:
  - .args:
      - .actual_access:  read_only
        .address_space:  global
        .offset:         0
        .size:           8
        .value_kind:     global_buffer
      - .offset:         8
        .size:           8
        .value_kind:     by_value
      - .actual_access:  read_only
        .address_space:  global
        .offset:         16
        .size:           8
        .value_kind:     global_buffer
      - .actual_access:  read_only
        .address_space:  global
        .offset:         24
        .size:           8
        .value_kind:     global_buffer
      - .actual_access:  read_only
        .address_space:  global
        .offset:         32
        .size:           8
        .value_kind:     global_buffer
      - .offset:         40
        .size:           8
        .value_kind:     by_value
      - .actual_access:  read_only
        .address_space:  global
        .offset:         48
        .size:           8
        .value_kind:     global_buffer
      - .actual_access:  read_only
        .address_space:  global
        .offset:         56
        .size:           8
        .value_kind:     global_buffer
      - .offset:         64
        .size:           4
        .value_kind:     by_value
      - .actual_access:  read_only
        .address_space:  global
        .offset:         72
        .size:           8
        .value_kind:     global_buffer
      - .actual_access:  read_only
        .address_space:  global
        .offset:         80
        .size:           8
        .value_kind:     global_buffer
      - .actual_access:  read_only
        .address_space:  global
        .offset:         88
        .size:           8
        .value_kind:     global_buffer
      - .actual_access:  write_only
        .address_space:  global
        .offset:         96
        .size:           8
        .value_kind:     global_buffer
    .group_segment_fixed_size: 0
    .kernarg_segment_align: 8
    .kernarg_segment_size: 104
    .language:       OpenCL C
    .language_version:
      - 2
      - 0
    .max_flat_workgroup_size: 99
    .name:           fft_rtc_fwd_len1782_factors_11_3_3_3_3_2_wgs_99_tpt_99_halfLds_dp_op_CI_CI_unitstride_sbrr_R2C_dirReg
    .private_segment_fixed_size: 0
    .sgpr_count:     40
    .sgpr_spill_count: 0
    .symbol:         fft_rtc_fwd_len1782_factors_11_3_3_3_3_2_wgs_99_tpt_99_halfLds_dp_op_CI_CI_unitstride_sbrr_R2C_dirReg.kd
    .uniform_work_group_size: 1
    .uses_dynamic_stack: false
    .vgpr_count:     235
    .vgpr_spill_count: 0
    .wavefront_size: 32
    .workgroup_processor_mode: 1
amdhsa.target:   amdgcn-amd-amdhsa--gfx1100
amdhsa.version:
  - 1
  - 2
...

	.end_amdgpu_metadata
